;; amdgpu-corpus repo=ROCm/rocFFT kind=compiled arch=gfx1201 opt=O3
	.text
	.amdgcn_target "amdgcn-amd-amdhsa--gfx1201"
	.amdhsa_code_object_version 6
	.protected	fft_rtc_fwd_len1078_factors_2_11_7_7_wgs_231_tpt_77_halfLds_dp_op_CI_CI_sbrr_dirReg ; -- Begin function fft_rtc_fwd_len1078_factors_2_11_7_7_wgs_231_tpt_77_halfLds_dp_op_CI_CI_sbrr_dirReg
	.globl	fft_rtc_fwd_len1078_factors_2_11_7_7_wgs_231_tpt_77_halfLds_dp_op_CI_CI_sbrr_dirReg
	.p2align	8
	.type	fft_rtc_fwd_len1078_factors_2_11_7_7_wgs_231_tpt_77_halfLds_dp_op_CI_CI_sbrr_dirReg,@function
fft_rtc_fwd_len1078_factors_2_11_7_7_wgs_231_tpt_77_halfLds_dp_op_CI_CI_sbrr_dirReg: ; @fft_rtc_fwd_len1078_factors_2_11_7_7_wgs_231_tpt_77_halfLds_dp_op_CI_CI_sbrr_dirReg
; %bb.0:
	s_clause 0x1
	s_load_b128 s[12:15], s[0:1], 0x18
	s_load_b128 s[8:11], s[0:1], 0x0
	v_mul_u32_u24_e32 v1, 0x354, v0
	v_mov_b32_e32 v5, 0
	v_mov_b32_e32 v3, 0
	v_mov_b32_e32 v4, 0
	s_load_b128 s[4:7], s[0:1], 0x58
	s_wait_kmcnt 0x0
	s_load_b64 s[18:19], s[12:13], 0x0
	s_load_b64 s[16:17], s[14:15], 0x0
	v_lshrrev_b32_e32 v1, 16, v1
	v_cmp_lt_u64_e64 s2, s[10:11], 2
	v_dual_mov_b32 v163, v4 :: v_dual_mov_b32 v162, v3
	s_delay_alu instid0(VALU_DEP_3) | instskip(SKIP_1) | instid1(VALU_DEP_4)
	v_mad_co_u64_u32 v[1:2], null, ttmp9, 3, v[1:2]
	v_mov_b32_e32 v2, v5
	s_and_b32 vcc_lo, exec_lo, s2
	s_delay_alu instid0(VALU_DEP_1)
	v_dual_mov_b32 v165, v2 :: v_dual_mov_b32 v164, v1
	s_cbranch_vccnz .LBB0_8
; %bb.1:
	s_load_b64 s[2:3], s[0:1], 0x10
	v_dual_mov_b32 v3, 0 :: v_dual_mov_b32 v8, v2
	v_dual_mov_b32 v4, 0 :: v_dual_mov_b32 v7, v1
	s_add_nc_u64 s[20:21], s[14:15], 8
	s_add_nc_u64 s[22:23], s[12:13], 8
	s_mov_b64 s[24:25], 1
	s_delay_alu instid0(VALU_DEP_1)
	v_dual_mov_b32 v163, v4 :: v_dual_mov_b32 v162, v3
	s_wait_kmcnt 0x0
	s_add_nc_u64 s[26:27], s[2:3], 8
	s_mov_b32 s3, 0
.LBB0_2:                                ; =>This Inner Loop Header: Depth=1
	s_load_b64 s[28:29], s[26:27], 0x0
                                        ; implicit-def: $vgpr164_vgpr165
	s_mov_b32 s2, exec_lo
	s_wait_kmcnt 0x0
	v_or_b32_e32 v6, s29, v8
	s_delay_alu instid0(VALU_DEP_1)
	v_cmpx_ne_u64_e32 0, v[5:6]
	s_wait_alu 0xfffe
	s_xor_b32 s30, exec_lo, s2
	s_cbranch_execz .LBB0_4
; %bb.3:                                ;   in Loop: Header=BB0_2 Depth=1
	s_cvt_f32_u32 s2, s28
	s_cvt_f32_u32 s31, s29
	s_sub_nc_u64 s[36:37], 0, s[28:29]
	s_wait_alu 0xfffe
	s_delay_alu instid0(SALU_CYCLE_1) | instskip(SKIP_1) | instid1(SALU_CYCLE_2)
	s_fmamk_f32 s2, s31, 0x4f800000, s2
	s_wait_alu 0xfffe
	v_s_rcp_f32 s2, s2
	s_delay_alu instid0(TRANS32_DEP_1) | instskip(SKIP_1) | instid1(SALU_CYCLE_2)
	s_mul_f32 s2, s2, 0x5f7ffffc
	s_wait_alu 0xfffe
	s_mul_f32 s31, s2, 0x2f800000
	s_wait_alu 0xfffe
	s_delay_alu instid0(SALU_CYCLE_2) | instskip(SKIP_1) | instid1(SALU_CYCLE_2)
	s_trunc_f32 s31, s31
	s_wait_alu 0xfffe
	s_fmamk_f32 s2, s31, 0xcf800000, s2
	s_cvt_u32_f32 s35, s31
	s_wait_alu 0xfffe
	s_delay_alu instid0(SALU_CYCLE_1) | instskip(SKIP_1) | instid1(SALU_CYCLE_2)
	s_cvt_u32_f32 s34, s2
	s_wait_alu 0xfffe
	s_mul_u64 s[38:39], s[36:37], s[34:35]
	s_wait_alu 0xfffe
	s_mul_hi_u32 s41, s34, s39
	s_mul_i32 s40, s34, s39
	s_mul_hi_u32 s2, s34, s38
	s_mul_i32 s33, s35, s38
	s_wait_alu 0xfffe
	s_add_nc_u64 s[40:41], s[2:3], s[40:41]
	s_mul_hi_u32 s31, s35, s38
	s_mul_hi_u32 s42, s35, s39
	s_add_co_u32 s2, s40, s33
	s_wait_alu 0xfffe
	s_add_co_ci_u32 s2, s41, s31
	s_mul_i32 s38, s35, s39
	s_add_co_ci_u32 s39, s42, 0
	s_wait_alu 0xfffe
	s_add_nc_u64 s[38:39], s[2:3], s[38:39]
	s_wait_alu 0xfffe
	v_add_co_u32 v2, s2, s34, s38
	s_delay_alu instid0(VALU_DEP_1) | instskip(SKIP_1) | instid1(VALU_DEP_1)
	s_cmp_lg_u32 s2, 0
	s_add_co_ci_u32 s35, s35, s39
	v_readfirstlane_b32 s34, v2
	s_wait_alu 0xfffe
	s_delay_alu instid0(VALU_DEP_1)
	s_mul_u64 s[36:37], s[36:37], s[34:35]
	s_wait_alu 0xfffe
	s_mul_hi_u32 s39, s34, s37
	s_mul_i32 s38, s34, s37
	s_mul_hi_u32 s2, s34, s36
	s_mul_i32 s33, s35, s36
	s_wait_alu 0xfffe
	s_add_nc_u64 s[38:39], s[2:3], s[38:39]
	s_mul_hi_u32 s31, s35, s36
	s_mul_hi_u32 s34, s35, s37
	s_wait_alu 0xfffe
	s_add_co_u32 s2, s38, s33
	s_add_co_ci_u32 s2, s39, s31
	s_mul_i32 s36, s35, s37
	s_add_co_ci_u32 s37, s34, 0
	s_wait_alu 0xfffe
	s_add_nc_u64 s[36:37], s[2:3], s[36:37]
	s_wait_alu 0xfffe
	v_add_co_u32 v2, s2, v2, s36
	s_delay_alu instid0(VALU_DEP_1) | instskip(SKIP_1) | instid1(VALU_DEP_1)
	s_cmp_lg_u32 s2, 0
	s_add_co_ci_u32 s2, s35, s37
	v_mul_hi_u32 v6, v7, v2
	s_wait_alu 0xfffe
	v_mad_co_u64_u32 v[9:10], null, v7, s2, 0
	v_mad_co_u64_u32 v[11:12], null, v8, v2, 0
	;; [unrolled: 1-line block ×3, first 2 shown]
	s_delay_alu instid0(VALU_DEP_3) | instskip(SKIP_1) | instid1(VALU_DEP_4)
	v_add_co_u32 v2, vcc_lo, v6, v9
	s_wait_alu 0xfffd
	v_add_co_ci_u32_e32 v6, vcc_lo, 0, v10, vcc_lo
	s_delay_alu instid0(VALU_DEP_2) | instskip(SKIP_1) | instid1(VALU_DEP_2)
	v_add_co_u32 v2, vcc_lo, v2, v11
	s_wait_alu 0xfffd
	v_add_co_ci_u32_e32 v2, vcc_lo, v6, v12, vcc_lo
	s_wait_alu 0xfffd
	v_add_co_ci_u32_e32 v6, vcc_lo, 0, v14, vcc_lo
	s_delay_alu instid0(VALU_DEP_2) | instskip(SKIP_1) | instid1(VALU_DEP_2)
	v_add_co_u32 v2, vcc_lo, v2, v13
	s_wait_alu 0xfffd
	v_add_co_ci_u32_e32 v6, vcc_lo, 0, v6, vcc_lo
	s_delay_alu instid0(VALU_DEP_2) | instskip(SKIP_1) | instid1(VALU_DEP_3)
	v_mul_lo_u32 v11, s29, v2
	v_mad_co_u64_u32 v[9:10], null, s28, v2, 0
	v_mul_lo_u32 v12, s28, v6
	s_delay_alu instid0(VALU_DEP_2) | instskip(NEXT) | instid1(VALU_DEP_2)
	v_sub_co_u32 v9, vcc_lo, v7, v9
	v_add3_u32 v10, v10, v12, v11
	s_delay_alu instid0(VALU_DEP_1) | instskip(SKIP_1) | instid1(VALU_DEP_1)
	v_sub_nc_u32_e32 v11, v8, v10
	s_wait_alu 0xfffd
	v_subrev_co_ci_u32_e64 v11, s2, s29, v11, vcc_lo
	v_add_co_u32 v12, s2, v2, 2
	s_wait_alu 0xf1ff
	v_add_co_ci_u32_e64 v13, s2, 0, v6, s2
	v_sub_co_u32 v14, s2, v9, s28
	v_sub_co_ci_u32_e32 v10, vcc_lo, v8, v10, vcc_lo
	s_wait_alu 0xf1ff
	v_subrev_co_ci_u32_e64 v11, s2, 0, v11, s2
	s_delay_alu instid0(VALU_DEP_3) | instskip(NEXT) | instid1(VALU_DEP_3)
	v_cmp_le_u32_e32 vcc_lo, s28, v14
	v_cmp_eq_u32_e64 s2, s29, v10
	s_wait_alu 0xfffd
	v_cndmask_b32_e64 v14, 0, -1, vcc_lo
	v_cmp_le_u32_e32 vcc_lo, s29, v11
	s_wait_alu 0xfffd
	v_cndmask_b32_e64 v15, 0, -1, vcc_lo
	v_cmp_le_u32_e32 vcc_lo, s28, v9
	;; [unrolled: 3-line block ×3, first 2 shown]
	s_wait_alu 0xfffd
	v_cndmask_b32_e64 v16, 0, -1, vcc_lo
	v_cmp_eq_u32_e32 vcc_lo, s29, v11
	s_wait_alu 0xf1ff
	s_delay_alu instid0(VALU_DEP_2)
	v_cndmask_b32_e64 v9, v16, v9, s2
	s_wait_alu 0xfffd
	v_cndmask_b32_e32 v11, v15, v14, vcc_lo
	v_add_co_u32 v14, vcc_lo, v2, 1
	s_wait_alu 0xfffd
	v_add_co_ci_u32_e32 v15, vcc_lo, 0, v6, vcc_lo
	s_delay_alu instid0(VALU_DEP_3) | instskip(SKIP_1) | instid1(VALU_DEP_2)
	v_cmp_ne_u32_e32 vcc_lo, 0, v11
	s_wait_alu 0xfffd
	v_dual_cndmask_b32 v10, v15, v13 :: v_dual_cndmask_b32 v11, v14, v12
	v_cmp_ne_u32_e32 vcc_lo, 0, v9
	s_wait_alu 0xfffd
	s_delay_alu instid0(VALU_DEP_2) | instskip(NEXT) | instid1(VALU_DEP_3)
	v_cndmask_b32_e32 v165, v6, v10, vcc_lo
	v_cndmask_b32_e32 v164, v2, v11, vcc_lo
.LBB0_4:                                ;   in Loop: Header=BB0_2 Depth=1
	s_wait_alu 0xfffe
	s_and_not1_saveexec_b32 s2, s30
	s_cbranch_execz .LBB0_6
; %bb.5:                                ;   in Loop: Header=BB0_2 Depth=1
	v_cvt_f32_u32_e32 v2, s28
	s_sub_co_i32 s30, 0, s28
	v_mov_b32_e32 v165, v5
	s_delay_alu instid0(VALU_DEP_2) | instskip(NEXT) | instid1(TRANS32_DEP_1)
	v_rcp_iflag_f32_e32 v2, v2
	v_mul_f32_e32 v2, 0x4f7ffffe, v2
	s_delay_alu instid0(VALU_DEP_1) | instskip(SKIP_1) | instid1(VALU_DEP_1)
	v_cvt_u32_f32_e32 v2, v2
	s_wait_alu 0xfffe
	v_mul_lo_u32 v6, s30, v2
	s_delay_alu instid0(VALU_DEP_1) | instskip(NEXT) | instid1(VALU_DEP_1)
	v_mul_hi_u32 v6, v2, v6
	v_add_nc_u32_e32 v2, v2, v6
	s_delay_alu instid0(VALU_DEP_1) | instskip(NEXT) | instid1(VALU_DEP_1)
	v_mul_hi_u32 v2, v7, v2
	v_mul_lo_u32 v6, v2, s28
	v_add_nc_u32_e32 v9, 1, v2
	s_delay_alu instid0(VALU_DEP_2) | instskip(NEXT) | instid1(VALU_DEP_1)
	v_sub_nc_u32_e32 v6, v7, v6
	v_subrev_nc_u32_e32 v10, s28, v6
	v_cmp_le_u32_e32 vcc_lo, s28, v6
	s_wait_alu 0xfffd
	s_delay_alu instid0(VALU_DEP_2) | instskip(SKIP_1) | instid1(VALU_DEP_2)
	v_cndmask_b32_e32 v6, v6, v10, vcc_lo
	v_cndmask_b32_e32 v2, v2, v9, vcc_lo
	v_cmp_le_u32_e32 vcc_lo, s28, v6
	s_delay_alu instid0(VALU_DEP_2) | instskip(SKIP_1) | instid1(VALU_DEP_1)
	v_add_nc_u32_e32 v9, 1, v2
	s_wait_alu 0xfffd
	v_cndmask_b32_e32 v164, v2, v9, vcc_lo
.LBB0_6:                                ;   in Loop: Header=BB0_2 Depth=1
	s_wait_alu 0xfffe
	s_or_b32 exec_lo, exec_lo, s2
	v_mul_lo_u32 v2, v165, s28
	s_delay_alu instid0(VALU_DEP_2)
	v_mul_lo_u32 v6, v164, s29
	s_load_b64 s[30:31], s[22:23], 0x0
	v_mad_co_u64_u32 v[9:10], null, v164, s28, 0
	s_load_b64 s[28:29], s[20:21], 0x0
	s_add_nc_u64 s[24:25], s[24:25], 1
	s_add_nc_u64 s[20:21], s[20:21], 8
	s_wait_alu 0xfffe
	v_cmp_ge_u64_e64 s2, s[24:25], s[10:11]
	s_add_nc_u64 s[22:23], s[22:23], 8
	s_add_nc_u64 s[26:27], s[26:27], 8
	v_add3_u32 v2, v10, v6, v2
	v_sub_co_u32 v6, vcc_lo, v7, v9
	s_wait_alu 0xfffd
	s_delay_alu instid0(VALU_DEP_2) | instskip(SKIP_2) | instid1(VALU_DEP_1)
	v_sub_co_ci_u32_e32 v2, vcc_lo, v8, v2, vcc_lo
	s_and_b32 vcc_lo, exec_lo, s2
	s_wait_kmcnt 0x0
	v_mul_lo_u32 v7, s30, v2
	v_mul_lo_u32 v8, s31, v6
	v_mad_co_u64_u32 v[3:4], null, s30, v6, v[3:4]
	v_mul_lo_u32 v2, s28, v2
	v_mul_lo_u32 v9, s29, v6
	v_mad_co_u64_u32 v[162:163], null, s28, v6, v[162:163]
	s_delay_alu instid0(VALU_DEP_4) | instskip(NEXT) | instid1(VALU_DEP_2)
	v_add3_u32 v4, v8, v4, v7
	v_add3_u32 v163, v9, v163, v2
	s_wait_alu 0xfffe
	s_cbranch_vccnz .LBB0_8
; %bb.7:                                ;   in Loop: Header=BB0_2 Depth=1
	v_dual_mov_b32 v7, v164 :: v_dual_mov_b32 v8, v165
	s_branch .LBB0_2
.LBB0_8:
	s_load_b64 s[0:1], s[0:1], 0x28
	v_mul_hi_u32 v2, 0x3531ded, v0
	s_lshl_b64 s[10:11], s[10:11], 3
                                        ; implicit-def: $vgpr168
                                        ; implicit-def: $vgpr169
                                        ; implicit-def: $vgpr173
                                        ; implicit-def: $vgpr174
                                        ; implicit-def: $vgpr175
	s_wait_kmcnt 0x0
	v_cmp_gt_u64_e32 vcc_lo, s[0:1], v[164:165]
	v_cmp_le_u64_e64 s0, s[0:1], v[164:165]
	s_delay_alu instid0(VALU_DEP_1)
	s_and_saveexec_b32 s1, s0
	s_wait_alu 0xfffe
	s_xor_b32 s0, exec_lo, s1
; %bb.9:
	v_mul_u32_u24_e32 v2, 0x4d, v2
                                        ; implicit-def: $vgpr3_vgpr4
	s_delay_alu instid0(VALU_DEP_1) | instskip(NEXT) | instid1(VALU_DEP_1)
	v_sub_nc_u32_e32 v168, v0, v2
                                        ; implicit-def: $vgpr2
                                        ; implicit-def: $vgpr0
	v_add_nc_u32_e32 v169, 0x4d, v168
	v_add_nc_u32_e32 v173, 0x9a, v168
	;; [unrolled: 1-line block ×4, first 2 shown]
; %bb.10:
	s_wait_alu 0xfffe
	s_or_saveexec_b32 s1, s0
	s_add_nc_u64 s[2:3], s[14:15], s[10:11]
                                        ; implicit-def: $vgpr90_vgpr91
                                        ; implicit-def: $vgpr78_vgpr79
                                        ; implicit-def: $vgpr94_vgpr95
                                        ; implicit-def: $vgpr82_vgpr83
                                        ; implicit-def: $vgpr98_vgpr99
                                        ; implicit-def: $vgpr86_vgpr87
                                        ; implicit-def: $vgpr74_vgpr75
                                        ; implicit-def: $vgpr70_vgpr71
                                        ; implicit-def: $vgpr66_vgpr67
                                        ; implicit-def: $vgpr54_vgpr55
                                        ; implicit-def: $vgpr58_vgpr59
                                        ; implicit-def: $vgpr46_vgpr47
                                        ; implicit-def: $vgpr38_vgpr39
                                        ; implicit-def: $vgpr34_vgpr35
	s_wait_alu 0xfffe
	s_xor_b32 exec_lo, exec_lo, s1
	s_cbranch_execz .LBB0_12
; %bb.11:
	s_add_nc_u64 s[10:11], s[12:13], s[10:11]
	v_mul_u32_u24_e32 v2, 0x4d, v2
	s_load_b64 s[10:11], s[10:11], 0x0
	s_delay_alu instid0(VALU_DEP_1) | instskip(SKIP_1) | instid1(VALU_DEP_2)
	v_sub_nc_u32_e32 v168, v0, v2
	v_lshlrev_b64_e32 v[2:3], 4, v[3:4]
	v_mad_co_u64_u32 v[5:6], null, s18, v168, 0
	v_add_nc_u32_e32 v17, 0x21b, v168
	v_add_nc_u32_e32 v18, 0x268, v168
	;; [unrolled: 1-line block ×4, first 2 shown]
	v_dual_mov_b32 v0, v6 :: v_dual_add_nc_u32 v175, 0x1ce, v168
	v_mad_co_u64_u32 v[7:8], null, s18, v17, 0
	v_add_nc_u32_e32 v169, 0x4d, v168
	s_wait_kmcnt 0x0
	v_mul_lo_u32 v6, s11, v164
	v_mul_lo_u32 v19, s10, v165
	v_mad_co_u64_u32 v[11:12], null, s10, v164, 0
	v_mad_co_u64_u32 v[13:14], null, s18, v18, 0
	;; [unrolled: 1-line block ×3, first 2 shown]
	v_mov_b32_e32 v0, v8
	v_mad_co_u64_u32 v[9:10], null, s18, v169, 0
	v_add3_u32 v12, v12, v19, v6
	s_delay_alu instid0(VALU_DEP_4) | instskip(NEXT) | instid1(VALU_DEP_2)
	v_dual_mov_b32 v6, v15 :: v_dual_add_nc_u32 v173, 0x9a, v168
	v_lshlrev_b64_e32 v[11:12], 4, v[11:12]
	s_delay_alu instid0(VALU_DEP_4) | instskip(SKIP_2) | instid1(VALU_DEP_4)
	v_mov_b32_e32 v4, v10
	v_mov_b32_e32 v10, v14
	v_mad_co_u64_u32 v[14:15], null, s19, v17, v[0:1]
	v_add_co_u32 v0, s0, s4, v11
	s_delay_alu instid0(VALU_DEP_4)
	v_mad_co_u64_u32 v[15:16], null, s19, v169, v[4:5]
	v_lshlrev_b64_e32 v[4:5], 4, v[5:6]
	s_wait_alu 0xf1ff
	v_add_co_ci_u32_e64 v6, s0, s5, v12, s0
	v_mov_b32_e32 v8, v14
	v_add_co_u32 v17, s0, v0, v2
	s_wait_alu 0xf1ff
	s_delay_alu instid0(VALU_DEP_3) | instskip(NEXT) | instid1(VALU_DEP_3)
	v_add_co_ci_u32_e64 v19, s0, v6, v3, s0
	v_lshlrev_b64_e32 v[2:3], 4, v[7:8]
	s_delay_alu instid0(VALU_DEP_3)
	v_add_co_u32 v4, s0, v17, v4
	v_mad_co_u64_u32 v[6:7], null, s19, v18, v[10:11]
	v_mad_co_u64_u32 v[7:8], null, s18, v173, 0
	s_wait_alu 0xf1ff
	v_add_co_ci_u32_e64 v5, s0, v19, v5, s0
	v_add_co_u32 v2, s0, v17, v2
	v_dual_mov_b32 v10, v15 :: v_dual_add_nc_u32 v15, 0x2b5, v168
	s_wait_alu 0xf1ff
	v_add_co_ci_u32_e64 v3, s0, v19, v3, s0
	s_clause 0x1
	global_load_b128 v[32:35], v[4:5], off
	global_load_b128 v[36:39], v[2:3], off
	v_mov_b32_e32 v14, v6
	v_mov_b32_e32 v0, v8
	v_mad_co_u64_u32 v[4:5], null, s18, v15, 0
	v_add_nc_u32_e32 v16, 0xe7, v168
	v_lshlrev_b64_e32 v[2:3], 4, v[9:10]
	v_lshlrev_b64_e32 v[8:9], 4, v[13:14]
	v_mad_co_u64_u32 v[10:11], null, s19, v173, v[0:1]
	s_delay_alu instid0(VALU_DEP_4) | instskip(NEXT) | instid1(VALU_DEP_4)
	v_mad_co_u64_u32 v[11:12], null, s18, v16, 0
	v_add_co_u32 v2, s0, v17, v2
	v_mov_b32_e32 v0, v5
	s_wait_alu 0xf1ff
	v_add_co_ci_u32_e64 v3, s0, v19, v3, s0
	v_add_co_u32 v5, s0, v17, v8
	v_add_nc_u32_e32 v18, 0x302, v168
	s_wait_alu 0xf1ff
	v_add_co_ci_u32_e64 v6, s0, v19, v9, s0
	v_mov_b32_e32 v8, v10
	v_mad_co_u64_u32 v[9:10], null, s19, v15, v[0:1]
	v_mov_b32_e32 v0, v12
	v_mad_co_u64_u32 v[13:14], null, s18, v18, 0
	s_clause 0x1
	global_load_b128 v[44:47], v[2:3], off
	global_load_b128 v[56:59], v[5:6], off
	v_lshlrev_b64_e32 v[2:3], 4, v[7:8]
	v_mad_co_u64_u32 v[6:7], null, s19, v16, v[0:1]
	v_mov_b32_e32 v5, v9
	v_mad_co_u64_u32 v[9:10], null, s18, v174, 0
	v_mov_b32_e32 v0, v14
	v_add_co_u32 v2, s0, v17, v2
	s_delay_alu instid0(VALU_DEP_4) | instskip(SKIP_1) | instid1(VALU_DEP_4)
	v_lshlrev_b64_e32 v[4:5], 4, v[4:5]
	v_mov_b32_e32 v12, v6
	v_mad_co_u64_u32 v[6:7], null, s19, v18, v[0:1]
	s_wait_alu 0xf1ff
	v_add_co_ci_u32_e64 v3, s0, v19, v3, s0
	s_delay_alu instid0(VALU_DEP_4)
	v_add_co_u32 v4, s0, v17, v4
	v_lshlrev_b64_e32 v[7:8], 4, v[11:12]
	v_add_nc_u32_e32 v15, 0x34f, v168
	s_wait_alu 0xf1ff
	v_add_co_ci_u32_e64 v5, s0, v19, v5, s0
	v_mov_b32_e32 v0, v10
	s_clause 0x1
	global_load_b128 v[52:55], v[2:3], off
	global_load_b128 v[64:67], v[4:5], off
	v_mov_b32_e32 v14, v6
	v_add_co_u32 v2, s0, v17, v7
	v_mad_co_u64_u32 v[6:7], null, s18, v15, 0
	v_add_nc_u32_e32 v16, 0x181, v168
	v_mad_co_u64_u32 v[10:11], null, s19, v174, v[0:1]
	v_add_nc_u32_e32 v18, 0x39c, v168
	v_lshlrev_b64_e32 v[4:5], 4, v[13:14]
	s_delay_alu instid0(VALU_DEP_4) | instskip(SKIP_1) | instid1(VALU_DEP_4)
	v_mad_co_u64_u32 v[11:12], null, s18, v16, 0
	v_mov_b32_e32 v0, v7
	v_mad_co_u64_u32 v[13:14], null, s18, v18, 0
	s_wait_alu 0xf1ff
	v_add_co_ci_u32_e64 v3, s0, v19, v8, s0
	v_add_co_u32 v4, s0, v17, v4
	v_mad_co_u64_u32 v[7:8], null, s19, v15, v[0:1]
	v_mov_b32_e32 v0, v12
	s_wait_alu 0xf1ff
	v_add_co_ci_u32_e64 v5, s0, v19, v5, s0
	s_clause 0x1
	global_load_b128 v[68:71], v[2:3], off
	global_load_b128 v[72:75], v[4:5], off
	v_mad_co_u64_u32 v[4:5], null, s19, v16, v[0:1]
	v_mov_b32_e32 v0, v14
	v_lshlrev_b64_e32 v[2:3], 4, v[9:10]
	v_mad_co_u64_u32 v[8:9], null, s18, v175, 0
	v_lshlrev_b64_e32 v[5:6], 4, v[6:7]
	s_delay_alu instid0(VALU_DEP_4)
	v_mad_co_u64_u32 v[14:15], null, s19, v18, v[0:1]
	v_mad_co_u64_u32 v[15:16], null, s18, v20, 0
	v_add_co_u32 v2, s0, v17, v2
	v_mov_b32_e32 v0, v9
	v_mov_b32_e32 v12, v4
	s_wait_alu 0xf1ff
	v_add_co_ci_u32_e64 v3, s0, v19, v3, s0
	v_add_co_u32 v4, s0, v17, v5
	v_mad_co_u64_u32 v[9:10], null, s19, v175, v[0:1]
	v_mov_b32_e32 v0, v16
	s_wait_alu 0xf1ff
	v_add_co_ci_u32_e64 v5, s0, v19, v6, s0
	v_lshlrev_b64_e32 v[6:7], 4, v[11:12]
	s_delay_alu instid0(VALU_DEP_3) | instskip(SKIP_2) | instid1(VALU_DEP_4)
	v_mad_co_u64_u32 v[10:11], null, s19, v20, v[0:1]
	v_lshlrev_b64_e32 v[11:12], 4, v[13:14]
	v_lshlrev_b64_e32 v[8:9], 4, v[8:9]
	v_add_co_u32 v6, s0, v17, v6
	s_wait_alu 0xf1ff
	v_add_co_ci_u32_e64 v7, s0, v19, v7, s0
	v_mov_b32_e32 v16, v10
	v_add_co_u32 v10, s0, v17, v11
	s_wait_alu 0xf1ff
	v_add_co_ci_u32_e64 v11, s0, v19, v12, s0
	s_delay_alu instid0(VALU_DEP_3) | instskip(SKIP_3) | instid1(VALU_DEP_3)
	v_lshlrev_b64_e32 v[12:13], 4, v[15:16]
	v_add_co_u32 v8, s0, v17, v8
	s_wait_alu 0xf1ff
	v_add_co_ci_u32_e64 v9, s0, v19, v9, s0
	v_add_co_u32 v12, s0, v17, v12
	s_wait_alu 0xf1ff
	v_add_co_ci_u32_e64 v13, s0, v19, v13, s0
	s_clause 0x5
	global_load_b128 v[84:87], v[2:3], off
	global_load_b128 v[96:99], v[4:5], off
	;; [unrolled: 1-line block ×6, first 2 shown]
.LBB0_12:
	s_or_b32 exec_lo, exec_lo, s1
	s_wait_loadcnt 0xc
	v_add_f64_e64 v[12:13], v[32:33], -v[36:37]
	s_wait_loadcnt 0xa
	v_add_f64_e64 v[16:17], v[44:45], -v[56:57]
	;; [unrolled: 2-line block ×7, first 2 shown]
	v_mul_hi_u32 v0, 0xaaaaaaab, v1
	s_load_b64 s[2:3], s[2:3], 0x0
	v_cmp_gt_u32_e64 s0, 21, v168
	v_lshlrev_b32_e32 v176, 3, v169
	s_delay_alu instid0(VALU_DEP_3) | instskip(NEXT) | instid1(VALU_DEP_1)
	v_lshrrev_b32_e32 v0, 1, v0
	v_lshl_add_u32 v0, v0, 1, v0
	s_delay_alu instid0(VALU_DEP_1) | instskip(NEXT) | instid1(VALU_DEP_1)
	v_sub_nc_u32_e32 v0, v1, v0
	v_mul_u32_u24_e32 v0, 0x436, v0
	s_delay_alu instid0(VALU_DEP_1)
	v_lshlrev_b32_e32 v172, 3, v0
	v_lshlrev_b32_e32 v0, 3, v168
	v_fma_f64 v[10:11], v[32:33], 2.0, -v[12:13]
	v_fma_f64 v[14:15], v[44:45], 2.0, -v[16:17]
	;; [unrolled: 1-line block ×7, first 2 shown]
	v_add_nc_u32_e32 v1, 0, v172
	v_add3_u32 v170, 0, v0, v172
	s_delay_alu instid0(VALU_DEP_2)
	v_lshl_add_u32 v56, v168, 4, v1
	v_add_nc_u32_e32 v171, v1, v0
	v_lshl_add_u32 v68, v169, 4, v1
	v_lshl_add_u32 v61, v173, 4, v1
	v_add_nc_u32_e32 v40, 0x800, v170
	v_add_nc_u32_e32 v41, 0xc00, v170
	v_lshl_add_u32 v60, v174, 4, v1
	v_add_nc_u32_e32 v48, 0x1400, v170
	v_lshl_add_u32 v57, v175, 4, v1
	v_add_nc_u32_e32 v49, 0x1800, v170
	ds_store_b128 v56, v[10:13]
	ds_store_b128 v68, v[14:17]
	;; [unrolled: 1-line block ×3, first 2 shown]
	ds_store_b128 v56, v[22:25] offset:3696
	ds_store_b128 v60, v[26:29]
	ds_store_b128 v56, v[2:5] offset:6160
	ds_store_b128 v57, v[6:9]
	global_wb scope:SCOPE_SE
	s_wait_dscnt 0x0
	s_wait_kmcnt 0x0
	s_barrier_signal -1
	s_barrier_wait -1
	global_inv scope:SCOPE_SE
	ds_load_b64 v[166:167], v171
	ds_load_2addr_b64 v[62:65], v170 offset0:98 offset1:196
	ds_load_2addr_b64 v[42:45], v40 offset0:38 offset1:136
	;; [unrolled: 1-line block ×5, first 2 shown]
                                        ; implicit-def: $vgpr12_vgpr13
                                        ; implicit-def: $vgpr16_vgpr17
                                        ; implicit-def: $vgpr20_vgpr21
                                        ; implicit-def: $vgpr24_vgpr25
	s_and_saveexec_b32 s1, s0
	s_cbranch_execz .LBB0_14
; %bb.13:
	v_add3_u32 v0, 0, v176, v172
	v_add_nc_u32_e32 v1, 0x400, v170
	v_add_nc_u32_e32 v2, 0x1000, v170
	;; [unrolled: 1-line block ×3, first 2 shown]
	ds_load_b64 v[4:5], v0
	ds_load_2addr_b64 v[6:9], v1 offset0:47 offset1:145
	ds_load_2addr_b64 v[22:25], v40 offset0:115 offset1:213
	;; [unrolled: 1-line block ×5, first 2 shown]
.LBB0_14:
	s_wait_alu 0xfffe
	s_or_b32 exec_lo, exec_lo, s1
	v_add_f64_e64 v[76:77], v[34:35], -v[38:39]
	v_add_f64_e64 v[92:93], v[46:47], -v[58:59]
	;; [unrolled: 1-line block ×7, first 2 shown]
	global_wb scope:SCOPE_SE
	s_wait_dscnt 0x0
	s_barrier_signal -1
	s_barrier_wait -1
	global_inv scope:SCOPE_SE
	v_fma_f64 v[74:75], v[34:35], 2.0, -v[76:77]
	v_fma_f64 v[90:91], v[46:47], 2.0, -v[92:93]
	;; [unrolled: 1-line block ×7, first 2 shown]
	ds_store_b128 v56, v[74:77]
	ds_store_b128 v68, v[90:93]
	;; [unrolled: 1-line block ×3, first 2 shown]
	ds_store_b128 v56, v[70:73] offset:3696
	ds_store_b128 v60, v[86:89]
	ds_store_b128 v56, v[0:3] offset:6160
	ds_store_b128 v57, v[34:37]
	global_wb scope:SCOPE_SE
	s_wait_dscnt 0x0
	s_barrier_signal -1
	s_barrier_wait -1
	global_inv scope:SCOPE_SE
	ds_load_b64 v[0:1], v171
	ds_load_2addr_b64 v[78:81], v170 offset0:98 offset1:196
	ds_load_2addr_b64 v[70:73], v40 offset0:38 offset1:136
	;; [unrolled: 1-line block ×5, first 2 shown]
                                        ; implicit-def: $vgpr40_vgpr41
                                        ; implicit-def: $vgpr48_vgpr49
                                        ; implicit-def: $vgpr56_vgpr57
                                        ; implicit-def: $vgpr60_vgpr61
	s_and_saveexec_b32 s1, s0
	s_cbranch_execz .LBB0_16
; %bb.15:
	v_add3_u32 v2, 0, v176, v172
	v_add_nc_u32_e32 v34, 0x400, v170
	v_add_nc_u32_e32 v38, 0x800, v170
	;; [unrolled: 1-line block ×5, first 2 shown]
	ds_load_b64 v[2:3], v2
	ds_load_2addr_b64 v[34:37], v34 offset0:47 offset1:145
	ds_load_2addr_b64 v[58:61], v38 offset0:115 offset1:213
	;; [unrolled: 1-line block ×5, first 2 shown]
.LBB0_16:
	s_wait_alu 0xfffe
	s_or_b32 exec_lo, exec_lo, s1
	v_and_b32_e32 v178, 1, v168
	v_and_b32_e32 v177, 1, v169
	s_mov_b32 s28, 0xf8bb580b
	s_mov_b32 s38, 0x8eee2c13
	s_mov_b32 s14, 0x43842ef
	v_mul_u32_u24_e32 v86, 10, v178
	s_mov_b32 s20, 0xbb3a28a1
	s_mov_b32 s24, 0xfd768dbf
	;; [unrolled: 1-line block ×4, first 2 shown]
	v_lshlrev_b32_e32 v86, 4, v86
	s_mov_b32 s15, 0xbfefac9e
	s_mov_b32 s21, 0xbfe82f19
	;; [unrolled: 1-line block ×4, first 2 shown]
	s_clause 0x9
	global_load_b128 v[98:101], v86, s[8:9]
	global_load_b128 v[154:157], v86, s[8:9] offset:144
	global_load_b128 v[158:161], v86, s[8:9] offset:16
	;; [unrolled: 1-line block ×9, first 2 shown]
	v_mul_u32_u24_e32 v86, 10, v177
	s_mov_b32 s4, 0xd9c712b6
	s_mov_b32 s10, 0x640f44db
	;; [unrolled: 1-line block ×4, first 2 shown]
	v_lshlrev_b32_e32 v179, 4, v86
	s_mov_b32 s13, 0x3feaeb8c
	s_mov_b32 s5, 0x3fda9628
	;; [unrolled: 1-line block ×3, first 2 shown]
	s_clause 0x5
	global_load_b128 v[126:129], v179, s[8:9]
	global_load_b128 v[90:93], v179, s[8:9] offset:16
	global_load_b128 v[94:97], v179, s[8:9] offset:32
	;; [unrolled: 1-line block ×5, first 2 shown]
	s_mov_b32 s37, 0x3fd207e7
	s_mov_b32 s35, 0x3fefac9e
	;; [unrolled: 1-line block ×3, first 2 shown]
	s_wait_alu 0xfffe
	s_mov_b32 s36, s24
	s_mov_b32 s34, s14
	;; [unrolled: 1-line block ×7, first 2 shown]
	s_wait_loadcnt_dscnt 0xf04
	v_mul_f64_e32 v[110:111], v[78:79], v[100:101]
	v_mul_f64_e32 v[100:101], v[62:63], v[100:101]
	s_wait_loadcnt 0xe
	v_mul_f64_e32 v[183:184], v[52:53], v[156:157]
	s_wait_loadcnt 0xd
	v_mul_f64_e32 v[185:186], v[80:81], v[160:161]
	v_mul_f64_e32 v[187:188], v[64:65], v[160:161]
	s_wait_loadcnt 0xc
	v_mul_f64_e32 v[189:190], v[50:51], v[148:149]
	s_wait_dscnt 0x0
	v_mul_f64_e32 v[191:192], v[84:85], v[156:157]
	v_fma_f64 v[62:63], v[62:63], v[98:99], -v[110:111]
	s_clause 0x3
	global_load_b128 v[110:113], v179, s[8:9] offset:96
	global_load_b128 v[114:117], v179, s[8:9] offset:112
	;; [unrolled: 1-line block ×4, first 2 shown]
	v_fma_f64 v[156:157], v[78:79], v[98:99], v[100:101]
	v_fma_f64 v[78:79], v[84:85], v[154:155], v[183:184]
	s_wait_loadcnt 0xf
	v_mul_f64_e32 v[84:85], v[70:71], v[152:153]
	v_fma_f64 v[160:161], v[64:65], v[158:159], -v[185:186]
	v_mul_f64_e32 v[98:99], v[42:43], v[152:153]
	v_mul_f64_e32 v[183:184], v[82:83], v[148:149]
	v_fma_f64 v[148:149], v[80:81], v[158:159], v[187:188]
	v_fma_f64 v[80:81], v[82:83], v[146:147], v[189:190]
	s_wait_loadcnt 0xd
	v_mul_f64_e32 v[82:83], v[72:73], v[140:141]
	v_mul_f64_e32 v[100:101], v[28:29], v[136:137]
	v_fma_f64 v[154:155], v[52:53], v[154:155], -v[191:192]
	v_mul_f64_e32 v[158:159], v[76:77], v[136:137]
	s_wait_loadcnt 0xc
	v_mul_f64_e32 v[187:188], v[74:75], v[120:121]
	s_wait_loadcnt 0xa
	v_mul_f64_e32 v[185:186], v[68:69], v[124:125]
	v_mul_f64_e32 v[124:125], v[32:33], v[124:125]
	global_wb scope:SCOPE_SE
	s_wait_loadcnt 0x0
	s_barrier_signal -1
	s_barrier_wait -1
	global_inv scope:SCOPE_SE
	v_add_f64_e32 v[64:65], v[166:167], v[62:63]
	v_add_f64_e64 v[52:53], v[156:157], -v[78:79]
	v_fma_f64 v[152:153], v[42:43], v[150:151], -v[84:85]
	v_mul_f64_e32 v[84:85], v[26:27], v[120:121]
	v_fma_f64 v[146:147], v[50:51], v[146:147], -v[183:184]
	v_mul_f64_e32 v[183:184], v[66:67], v[132:133]
	v_mul_f64_e32 v[132:133], v[30:31], v[132:133]
	v_fma_f64 v[136:137], v[44:45], v[138:139], -v[82:83]
	v_fma_f64 v[76:77], v[76:77], v[134:135], v[100:101]
	v_add_f64_e32 v[50:51], v[62:63], v[154:155]
	v_fma_f64 v[120:121], v[28:29], v[134:135], -v[158:159]
	v_add_f64_e32 v[42:43], v[64:65], v[160:161]
	v_mul_f64_e32 v[64:65], v[44:45], v[140:141]
	v_fma_f64 v[140:141], v[70:71], v[150:151], v[98:99]
	v_add_f64_e64 v[70:71], v[148:149], -v[80:81]
	v_mul_f64_e32 v[150:151], s[28:29], v[52:53]
	v_mul_f64_e32 v[100:101], s[38:39], v[52:53]
	v_mul_f64_e32 v[44:45], s[14:15], v[52:53]
	v_mul_f64_e32 v[82:83], s[20:21], v[52:53]
	v_mul_f64_e32 v[52:53], s[24:25], v[52:53]
	v_add_f64_e32 v[42:43], v[42:43], v[152:153]
	v_fma_f64 v[98:99], v[72:73], v[138:139], v[64:65]
	v_fma_f64 v[72:73], v[74:75], v[118:119], v[84:85]
	v_fma_f64 v[84:85], v[30:31], v[130:131], -v[183:184]
	v_add_f64_e64 v[28:29], v[140:141], -v[76:77]
	v_add_f64_e32 v[64:65], v[160:161], v[146:147]
	v_mul_f64_e32 v[134:135], s[38:39], v[70:71]
	v_fma_f64 v[138:139], v[50:51], s[12:13], -v[150:151]
	v_mul_f64_e32 v[158:159], s[20:21], v[70:71]
	v_fma_f64 v[189:190], v[50:51], s[4:5], -v[100:101]
	v_fma_f64 v[30:31], v[50:51], s[4:5], v[100:101]
	s_wait_alu 0xfffe
	v_mul_f64_e32 v[183:184], s[36:37], v[70:71]
	v_fma_f64 v[191:192], v[50:51], s[10:11], -v[44:45]
	v_mul_f64_e32 v[193:194], s[34:35], v[70:71]
	v_mul_f64_e32 v[70:71], s[26:27], v[70:71]
	v_fma_f64 v[44:45], v[50:51], s[10:11], v[44:45]
	v_fma_f64 v[195:196], v[50:51], s[18:19], -v[82:83]
	v_fma_f64 v[197:198], v[50:51], s[18:19], v[82:83]
	v_fma_f64 v[74:75], v[66:67], v[130:131], v[132:133]
	v_fma_f64 v[66:67], v[50:51], s[22:23], -v[52:53]
	v_fma_f64 v[52:53], v[50:51], s[22:23], v[52:53]
	v_fma_f64 v[118:119], v[26:27], v[118:119], -v[187:188]
	v_fma_f64 v[26:27], v[50:51], s[12:13], v[150:151]
	v_fma_f64 v[100:101], v[32:33], v[122:123], -v[185:186]
	v_mul_f64_e32 v[130:131], v[34:35], v[128:129]
	v_mul_f64_e32 v[32:33], v[6:7], v[128:129]
	v_fma_f64 v[82:83], v[68:69], v[122:123], v[124:125]
	v_add_f64_e32 v[50:51], v[152:153], v[120:121]
	v_add_f64_e32 v[42:43], v[42:43], v[136:137]
	v_add_f64_e64 v[122:123], v[98:99], -v[72:73]
	v_mul_f64_e32 v[124:125], s[14:15], v[28:29]
	v_mul_f64_e32 v[128:129], s[36:37], v[28:29]
	v_fma_f64 v[68:69], v[64:65], s[4:5], -v[134:135]
	v_add_f64_e32 v[132:133], v[166:167], v[138:139]
	v_fma_f64 v[138:139], v[64:65], s[18:19], -v[158:159]
	v_add_f64_e32 v[150:151], v[166:167], v[189:190]
	v_fma_f64 v[158:159], v[64:65], s[18:19], v[158:159]
	v_add_f64_e32 v[30:31], v[166:167], v[30:31]
	v_mul_f64_e32 v[185:186], s[30:31], v[28:29]
	v_fma_f64 v[134:135], v[64:65], s[4:5], v[134:135]
	v_fma_f64 v[187:188], v[64:65], s[22:23], -v[183:184]
	v_add_f64_e32 v[189:190], v[166:167], v[191:192]
	v_fma_f64 v[183:184], v[64:65], s[22:23], v[183:184]
	v_fma_f64 v[191:192], v[64:65], s[10:11], -v[193:194]
	v_fma_f64 v[193:194], v[64:65], s[10:11], v[193:194]
	v_fma_f64 v[199:200], v[64:65], s[12:13], -v[70:71]
	v_fma_f64 v[64:65], v[64:65], s[12:13], v[70:71]
	v_add_f64_e32 v[44:45], v[166:167], v[44:45]
	v_mul_f64_e32 v[201:202], s[28:29], v[28:29]
	v_add_f64_e32 v[195:196], v[166:167], v[195:196]
	v_add_f64_e32 v[197:198], v[166:167], v[197:198]
	;; [unrolled: 1-line block ×3, first 2 shown]
	v_mul_f64_e32 v[28:29], s[20:21], v[28:29]
	v_add_f64_e32 v[52:53], v[166:167], v[52:53]
	v_add_f64_e32 v[26:27], v[166:167], v[26:27]
	v_mul_f64_e32 v[166:167], v[36:37], v[92:93]
	v_fma_f64 v[70:71], v[34:35], v[126:127], v[32:33]
	v_add_f64_e32 v[32:33], v[136:137], v[118:119]
	v_add_f64_e32 v[42:43], v[42:43], v[84:85]
	v_mul_f64_e32 v[34:35], s[20:21], v[122:123]
	v_fma_f64 v[203:204], v[50:51], s[10:11], -v[124:125]
	v_add_f64_e32 v[132:133], v[68:69], v[132:133]
	v_fma_f64 v[68:69], v[6:7], v[126:127], -v[130:131]
	v_add_f64_e32 v[138:139], v[138:139], v[150:151]
	v_add_f64_e64 v[150:151], v[74:75], -v[82:83]
	v_add_f64_e32 v[30:31], v[158:159], v[30:31]
	v_fma_f64 v[158:159], v[50:51], s[22:23], -v[128:129]
	v_fma_f64 v[6:7], v[50:51], s[22:23], v[128:129]
	v_fma_f64 v[130:131], v[50:51], s[4:5], -v[185:186]
	v_add_f64_e32 v[128:129], v[187:188], v[189:190]
	v_fma_f64 v[126:127], v[50:51], s[4:5], v[185:186]
	v_mul_f64_e32 v[187:188], s[34:35], v[122:123]
	v_add_f64_e32 v[44:45], v[183:184], v[44:45]
	v_fma_f64 v[183:184], v[50:51], s[12:13], -v[201:202]
	v_add_f64_e32 v[185:186], v[191:192], v[195:196]
	v_fma_f64 v[189:190], v[50:51], s[12:13], v[201:202]
	v_add_f64_e32 v[191:192], v[193:194], v[197:198]
	v_mul_f64_e32 v[193:194], s[28:29], v[122:123]
	v_add_f64_e32 v[195:196], v[199:200], v[66:67]
	v_fma_f64 v[197:198], v[50:51], s[18:19], -v[28:29]
	v_add_f64_e32 v[52:53], v[64:65], v[52:53]
	v_mul_f64_e32 v[64:65], s[24:25], v[122:123]
	v_fma_f64 v[28:29], v[50:51], s[18:19], v[28:29]
	v_fma_f64 v[66:67], v[8:9], v[90:91], -v[166:167]
	v_mul_f64_e32 v[8:9], v[8:9], v[92:93]
	v_mul_f64_e32 v[92:93], v[58:59], v[96:97]
	v_fma_f64 v[50:51], v[50:51], s[10:11], v[124:125]
	v_add_f64_e32 v[26:27], v[134:135], v[26:27]
	v_mul_f64_e32 v[122:123], s[30:31], v[122:123]
	v_add_f64_e32 v[42:43], v[42:43], v[100:101]
	v_mul_f64_e32 v[96:97], v[22:23], v[96:97]
	v_add_f64_e32 v[124:125], v[84:85], v[100:101]
	v_add_f64_e32 v[132:133], v[203:204], v[132:133]
	v_mul_f64_e32 v[134:135], s[24:25], v[150:151]
	v_add_f64_e32 v[138:139], v[158:159], v[138:139]
	v_mul_f64_e32 v[158:159], s[26:27], v[150:151]
	;; [unrolled: 2-line block ×4, first 2 shown]
	v_mul_f64_e32 v[150:151], s[14:15], v[150:151]
	v_add_f64_e32 v[44:45], v[126:127], v[44:45]
	v_fma_f64 v[126:127], v[32:33], s[18:19], -v[34:35]
	v_add_f64_e32 v[183:184], v[183:184], v[185:186]
	v_fma_f64 v[185:186], v[32:33], s[10:11], -v[187:188]
	v_add_f64_e32 v[189:190], v[189:190], v[191:192]
	v_fma_f64 v[191:192], v[32:33], s[12:13], -v[193:194]
	v_fma_f64 v[187:188], v[32:33], s[10:11], v[187:188]
	v_add_f64_e32 v[195:196], v[197:198], v[195:196]
	v_fma_f64 v[193:194], v[32:33], s[12:13], v[193:194]
	v_fma_f64 v[197:198], v[32:33], s[22:23], -v[64:65]
	v_fma_f64 v[199:200], v[32:33], s[22:23], v[64:65]
	v_add_f64_e32 v[28:29], v[28:29], v[52:53]
	v_fma_f64 v[52:53], v[36:37], v[90:91], v[8:9]
	v_fma_f64 v[64:65], v[22:23], v[94:95], -v[92:93]
	v_fma_f64 v[22:23], v[32:33], s[18:19], v[34:35]
	v_add_f64_e32 v[26:27], v[50:51], v[26:27]
	v_fma_f64 v[201:202], v[32:33], s[4:5], -v[122:123]
	v_add_f64_e32 v[166:167], v[42:43], v[118:119]
	v_fma_f64 v[122:123], v[32:33], s[4:5], v[122:123]
	v_mul_f64_e32 v[8:9], v[60:61], v[88:89]
	v_mul_f64_e32 v[36:37], v[24:25], v[88:89]
	;; [unrolled: 1-line block ×3, first 2 shown]
	v_fma_f64 v[42:43], v[58:59], v[94:95], v[96:97]
	v_mul_f64_e32 v[34:35], v[56:57], v[108:109]
	v_mul_f64_e32 v[50:51], v[20:21], v[108:109]
	v_fma_f64 v[58:59], v[124:125], s[22:23], -v[134:135]
	v_fma_f64 v[90:91], v[124:125], s[22:23], v[134:135]
	v_fma_f64 v[92:93], v[124:125], s[12:13], -v[158:159]
	v_fma_f64 v[94:95], v[124:125], s[12:13], v[158:159]
	;; [unrolled: 2-line block ×4, first 2 shown]
	v_mul_f64_e32 v[30:31], v[18:19], v[104:105]
	v_add_f64_e32 v[104:105], v[126:127], v[132:133]
	v_add_f64_e32 v[126:127], v[185:186], v[138:139]
	;; [unrolled: 1-line block ×8, first 2 shown]
	v_fma_f64 v[166:167], v[124:125], s[10:11], -v[150:151]
	v_fma_f64 v[124:125], v[124:125], s[10:11], v[150:151]
	v_add_f64_e32 v[150:151], v[197:198], v[183:184]
	v_add_f64_e32 v[183:184], v[199:200], v[189:190]
	;; [unrolled: 1-line block ×3, first 2 shown]
	v_fma_f64 v[44:45], v[24:25], v[86:87], -v[8:9]
	v_fma_f64 v[36:37], v[60:61], v[86:87], v[36:37]
	v_fma_f64 v[34:35], v[20:21], v[106:107], -v[34:35]
	v_fma_f64 v[28:29], v[56:57], v[106:107], v[50:51]
	v_lshrrev_b32_e32 v86, 1, v169
	v_mul_f64_e32 v[108:109], v[46:47], v[112:113]
	v_mul_f64_e32 v[112:113], v[14:15], v[112:113]
	;; [unrolled: 1-line block ×8, first 2 shown]
	v_fma_f64 v[26:27], v[54:55], v[102:103], v[30:31]
	v_add_f64_e32 v[8:9], v[58:59], v[104:105]
	v_add_f64_e32 v[6:7], v[94:95], v[6:7]
	;; [unrolled: 1-line block ×5, first 2 shown]
	v_fma_f64 v[32:33], v[18:19], v[102:103], -v[88:89]
	v_add_f64_e32 v[18:19], v[166:167], v[187:188]
	v_fma_f64 v[50:51], v[14:15], v[110:111], -v[108:109]
	v_fma_f64 v[30:31], v[46:47], v[110:111], v[112:113]
	v_fma_f64 v[46:47], v[16:17], v[114:115], -v[138:139]
	v_fma_f64 v[24:25], v[48:49], v[114:115], v[116:117]
	;; [unrolled: 2-line block ×3, first 2 shown]
	v_fma_f64 v[54:55], v[12:13], v[179:180], -v[189:190]
	v_add_f64_e32 v[10:11], v[92:93], v[126:127]
	v_add_f64_e32 v[12:13], v[96:97], v[128:129]
	v_fma_f64 v[22:23], v[40:41], v[179:180], v[181:182]
	v_add_f64_e32 v[14:15], v[158:159], v[150:151]
	v_add_f64_e32 v[16:17], v[130:131], v[183:184]
	;; [unrolled: 1-line block ×3, first 2 shown]
	v_lshrrev_b32_e32 v40, 1, v168
	s_delay_alu instid0(VALU_DEP_1) | instskip(NEXT) | instid1(VALU_DEP_1)
	v_mul_u32_u24_e32 v40, 22, v40
	v_or_b32_e32 v40, v40, v178
	v_add_f64_e32 v[58:59], v[191:192], v[154:155]
	s_delay_alu instid0(VALU_DEP_2) | instskip(NEXT) | instid1(VALU_DEP_1)
	v_lshlrev_b32_e32 v40, 3, v40
	v_add3_u32 v87, 0, v40, v172
	ds_store_2addr_b64 v87, v[10:11], v[12:13] offset0:4 offset1:6
	ds_store_2addr_b64 v87, v[14:15], v[18:19] offset0:8 offset1:10
	;; [unrolled: 1-line block ×4, first 2 shown]
	ds_store_2addr_b64 v87, v[58:59], v[8:9] offset1:2
	ds_store_b64 v87, v[60:61] offset:160
	s_and_saveexec_b32 s1, s0
	s_cbranch_execz .LBB0_18
; %bb.17:
	v_add_f64_e32 v[6:7], v[4:5], v[68:69]
	v_add_f64_e64 v[8:9], v[70:71], -v[22:23]
	v_add_f64_e64 v[10:11], v[52:53], -v[20:21]
	v_add_f64_e32 v[12:13], v[68:69], v[54:55]
	v_add_f64_e64 v[40:41], v[42:43], -v[24:25]
	v_add_f64_e32 v[56:57], v[66:67], v[48:49]
	v_add_f64_e32 v[106:107], v[64:65], v[46:47]
	;; [unrolled: 1-line block ×3, first 2 shown]
	v_mul_f64_e32 v[14:15], s[24:25], v[8:9]
	v_mul_f64_e32 v[16:17], s[20:21], v[8:9]
	;; [unrolled: 1-line block ×15, first 2 shown]
	v_add_f64_e32 v[6:7], v[6:7], v[64:65]
	v_fma_f64 v[92:93], v[12:13], s[22:23], v[14:15]
	v_fma_f64 v[14:15], v[12:13], s[22:23], -v[14:15]
	v_fma_f64 v[94:95], v[12:13], s[18:19], v[16:17]
	v_fma_f64 v[16:17], v[12:13], s[18:19], -v[16:17]
	v_fma_f64 v[96:97], v[12:13], s[10:11], -v[18:19]
	;; [unrolled: 1-line block ×3, first 2 shown]
	v_fma_f64 v[18:19], v[12:13], s[10:11], v[18:19]
	v_fma_f64 v[38:39], v[12:13], s[4:5], v[38:39]
	v_fma_f64 v[104:105], v[12:13], s[12:13], -v[8:9]
	v_fma_f64 v[8:9], v[12:13], s[12:13], v[8:9]
	v_add_f64_e64 v[12:13], v[36:37], -v[30:31]
	v_fma_f64 v[116:117], v[56:57], s[12:13], v[58:59]
	v_fma_f64 v[58:59], v[56:57], s[12:13], -v[58:59]
	v_fma_f64 v[122:123], v[56:57], s[10:11], v[60:61]
	v_fma_f64 v[60:61], v[56:57], s[10:11], -v[60:61]
	;; [unrolled: 2-line block ×5, first 2 shown]
	v_fma_f64 v[142:143], v[106:107], s[18:19], v[108:109]
	v_fma_f64 v[144:145], v[106:107], s[12:13], v[110:111]
	;; [unrolled: 1-line block ×3, first 2 shown]
	v_fma_f64 v[112:113], v[106:107], s[4:5], -v[112:113]
	v_fma_f64 v[158:159], v[106:107], s[22:23], v[114:115]
	v_fma_f64 v[114:115], v[106:107], s[22:23], -v[114:115]
	v_fma_f64 v[108:109], v[106:107], s[18:19], -v[108:109]
	;; [unrolled: 1-line block ×3, first 2 shown]
	v_fma_f64 v[166:167], v[106:107], s[10:11], v[40:41]
	v_fma_f64 v[40:41], v[106:107], s[10:11], -v[40:41]
	v_add_f64_e32 v[6:7], v[6:7], v[44:45]
	v_add_f64_e32 v[56:57], v[4:5], v[92:93]
	v_add_f64_e32 v[14:15], v[4:5], v[14:15]
	v_add_f64_e32 v[92:93], v[4:5], v[94:95]
	v_add_f64_e32 v[16:17], v[4:5], v[16:17]
	v_add_f64_e32 v[94:95], v[4:5], v[96:97]
	v_add_f64_e32 v[96:97], v[4:5], v[102:103]
	v_add_f64_e32 v[18:19], v[4:5], v[18:19]
	v_add_f64_e32 v[38:39], v[4:5], v[38:39]
	v_add_f64_e32 v[102:103], v[4:5], v[104:105]
	v_add_f64_e32 v[4:5], v[4:5], v[8:9]
	v_add_f64_e64 v[8:9], v[26:27], -v[28:29]
	v_add_f64_e32 v[104:105], v[44:45], v[50:51]
	v_mul_f64_e32 v[130:131], s[30:31], v[12:13]
	v_mul_f64_e32 v[132:133], s[24:25], v[12:13]
	;; [unrolled: 1-line block ×5, first 2 shown]
	v_add_f64_e32 v[6:7], v[6:7], v[32:33]
	v_add_f64_e32 v[56:57], v[116:117], v[56:57]
	;; [unrolled: 1-line block ×12, first 2 shown]
	v_mul_f64_e32 v[92:93], s[14:15], v[8:9]
	v_mul_f64_e32 v[94:95], s[30:31], v[8:9]
	;; [unrolled: 1-line block ×4, first 2 shown]
	v_fma_f64 v[106:107], v[104:105], s[4:5], v[130:131]
	v_fma_f64 v[122:123], v[104:105], s[22:23], v[132:133]
	v_fma_f64 v[124:125], v[104:105], s[22:23], -v[132:133]
	v_fma_f64 v[128:129], v[104:105], s[12:13], -v[134:135]
	;; [unrolled: 1-line block ×4, first 2 shown]
	v_fma_f64 v[126:127], v[104:105], s[12:13], v[134:135]
	v_fma_f64 v[130:131], v[104:105], s[10:11], v[138:139]
	v_mul_f64_e32 v[8:9], s[24:25], v[8:9]
	v_fma_f64 v[134:135], v[104:105], s[18:19], v[12:13]
	v_fma_f64 v[12:13], v[104:105], s[18:19], -v[12:13]
	v_add_f64_e32 v[6:7], v[6:7], v[34:35]
	v_add_f64_e32 v[56:57], v[142:143], v[56:57]
	;; [unrolled: 1-line block ×11, first 2 shown]
	v_fma_f64 v[40:41], v[90:91], s[10:11], v[92:93]
	v_fma_f64 v[104:105], v[90:91], s[4:5], v[94:95]
	;; [unrolled: 1-line block ×3, first 2 shown]
	v_fma_f64 v[96:97], v[90:91], s[18:19], -v[96:97]
	v_fma_f64 v[110:111], v[90:91], s[12:13], v[102:103]
	v_fma_f64 v[102:103], v[90:91], s[12:13], -v[102:103]
	v_fma_f64 v[92:93], v[90:91], s[10:11], -v[92:93]
	;; [unrolled: 1-line block ×3, first 2 shown]
	v_fma_f64 v[112:113], v[90:91], s[22:23], v[8:9]
	v_fma_f64 v[8:9], v[90:91], s[22:23], -v[8:9]
	v_add_f64_e32 v[6:7], v[6:7], v[50:51]
	v_add_f64_e32 v[56:57], v[106:107], v[56:57]
	;; [unrolled: 1-line block ×22, first 2 shown]
	v_mul_lo_u32 v10, v86, 22
	s_delay_alu instid0(VALU_DEP_1) | instskip(NEXT) | instid1(VALU_DEP_1)
	v_or_b32_e32 v10, v10, v177
	v_lshlrev_b32_e32 v10, 3, v10
	s_delay_alu instid0(VALU_DEP_1) | instskip(SKIP_1) | instid1(VALU_DEP_1)
	v_add3_u32 v10, 0, v10, v172
	v_add_f64_e32 v[6:7], v[6:7], v[48:49]
	v_add_f64_e32 v[6:7], v[6:7], v[54:55]
	ds_store_2addr_b64 v10, v[58:59], v[56:57] offset0:4 offset1:6
	ds_store_2addr_b64 v10, v[16:17], v[14:15] offset0:8 offset1:10
	;; [unrolled: 1-line block ×4, first 2 shown]
	ds_store_2addr_b64 v10, v[6:7], v[8:9] offset1:2
	ds_store_b64 v10, v[4:5] offset:160
.LBB0_18:
	s_wait_alu 0xfffe
	s_or_b32 exec_lo, exec_lo, s1
	v_add_f64_e32 v[4:5], v[0:1], v[156:157]
	v_add_f64_e64 v[6:7], v[62:63], -v[154:155]
	v_add_f64_e64 v[8:9], v[160:161], -v[146:147]
	v_add_f64_e32 v[10:11], v[156:157], v[78:79]
	v_add_f64_e64 v[38:39], v[152:153], -v[120:121]
	v_add_f64_e32 v[40:41], v[148:149], v[80:81]
	v_add_f64_e64 v[102:103], v[136:137], -v[118:119]
	v_add_f64_e64 v[84:85], v[84:85], -v[100:101]
	global_wb scope:SCOPE_SE
	s_wait_dscnt 0x0
	s_barrier_signal -1
	s_barrier_wait -1
	global_inv scope:SCOPE_SE
	v_add_f64_e32 v[4:5], v[4:5], v[148:149]
	v_mul_f64_e32 v[12:13], s[28:29], v[6:7]
	v_mul_f64_e32 v[14:15], s[38:39], v[6:7]
	;; [unrolled: 1-line block ×17, first 2 shown]
	v_add_f64_e32 v[4:5], v[4:5], v[140:141]
	v_fma_f64 v[88:89], v[10:11], s[12:13], v[12:13]
	v_fma_f64 v[90:91], v[10:11], s[4:5], v[14:15]
	v_fma_f64 v[14:15], v[10:11], s[4:5], -v[14:15]
	v_fma_f64 v[92:93], v[10:11], s[10:11], v[16:17]
	v_fma_f64 v[94:95], v[10:11], s[18:19], v[18:19]
	v_fma_f64 v[18:19], v[10:11], s[18:19], -v[18:19]
	v_fma_f64 v[96:97], v[10:11], s[22:23], v[6:7]
	v_fma_f64 v[6:7], v[10:11], s[22:23], -v[6:7]
	v_fma_f64 v[16:17], v[10:11], s[10:11], -v[16:17]
	;; [unrolled: 1-line block ×3, first 2 shown]
	v_add_f64_e32 v[12:13], v[140:141], v[76:77]
	v_fma_f64 v[112:113], v[40:41], s[4:5], v[56:57]
	v_fma_f64 v[56:57], v[40:41], s[4:5], -v[56:57]
	v_fma_f64 v[114:115], v[40:41], s[18:19], v[58:59]
	v_fma_f64 v[58:59], v[40:41], s[18:19], -v[58:59]
	;; [unrolled: 2-line block ×5, first 2 shown]
	v_add_f64_e32 v[4:5], v[4:5], v[98:99]
	v_add_f64_e32 v[40:41], v[0:1], v[88:89]
	;; [unrolled: 1-line block ×12, first 2 shown]
	v_mul_f64_e32 v[96:97], s[20:21], v[102:103]
	v_mul_f64_e32 v[98:99], s[34:35], v[102:103]
	v_fma_f64 v[124:125], v[12:13], s[10:11], v[104:105]
	v_fma_f64 v[104:105], v[12:13], s[10:11], -v[104:105]
	v_fma_f64 v[126:127], v[12:13], s[22:23], v[106:107]
	v_fma_f64 v[106:107], v[12:13], s[22:23], -v[106:107]
	;; [unrolled: 2-line block ×5, first 2 shown]
	v_mul_f64_e32 v[102:103], s[30:31], v[102:103]
	v_add_f64_e32 v[4:5], v[4:5], v[74:75]
	v_add_f64_e32 v[38:39], v[112:113], v[40:41]
	;; [unrolled: 1-line block ×12, first 2 shown]
	v_mul_f64_e32 v[56:57], s[24:25], v[84:85]
	v_mul_f64_e32 v[60:61], s[26:27], v[84:85]
	;; [unrolled: 1-line block ×3, first 2 shown]
	v_fma_f64 v[90:91], v[10:11], s[18:19], -v[96:97]
	v_fma_f64 v[92:93], v[10:11], s[10:11], v[98:99]
	v_fma_f64 v[94:95], v[10:11], s[10:11], -v[98:99]
	v_fma_f64 v[98:99], v[10:11], s[12:13], -v[100:101]
	;; [unrolled: 1-line block ×3, first 2 shown]
	v_fma_f64 v[114:115], v[10:11], s[4:5], v[102:103]
	v_add_f64_e32 v[4:5], v[4:5], v[82:83]
	v_mul_f64_e32 v[82:83], s[14:15], v[84:85]
	v_add_f64_e32 v[40:41], v[126:127], v[40:41]
	v_add_f64_e32 v[14:15], v[106:107], v[14:15]
	;; [unrolled: 1-line block ×10, first 2 shown]
	v_fma_f64 v[12:13], v[16:17], s[22:23], v[56:57]
	v_fma_f64 v[56:57], v[16:17], s[22:23], -v[56:57]
	v_fma_f64 v[104:105], v[16:17], s[4:5], v[74:75]
	v_fma_f64 v[74:75], v[16:17], s[4:5], -v[74:75]
	v_lshlrev_b32_e32 v108, 3, v173
	v_add_f64_e32 v[4:5], v[4:5], v[72:73]
	v_mul_f64_e32 v[72:73], s[20:21], v[84:85]
	v_fma_f64 v[84:85], v[10:11], s[18:19], v[96:97]
	v_fma_f64 v[96:97], v[10:11], s[12:13], v[100:101]
	v_fma_f64 v[100:101], v[10:11], s[22:23], v[122:123]
	v_fma_f64 v[10:11], v[10:11], s[4:5], -v[102:103]
	v_add_f64_e32 v[40:41], v[92:93], v[40:41]
	v_fma_f64 v[106:107], v[16:17], s[10:11], v[82:83]
	v_add_f64_e32 v[62:63], v[114:115], v[62:63]
	v_add_f64_e32 v[18:19], v[112:113], v[18:19]
	;; [unrolled: 1-line block ×5, first 2 shown]
	v_fma_f64 v[76:77], v[16:17], s[12:13], v[60:61]
	v_fma_f64 v[102:103], v[16:17], s[18:19], v[72:73]
	v_add_f64_e32 v[58:59], v[96:97], v[58:59]
	v_fma_f64 v[60:61], v[16:17], s[12:13], -v[60:61]
	v_fma_f64 v[72:73], v[16:17], s[18:19], -v[72:73]
	;; [unrolled: 1-line block ×3, first 2 shown]
	v_add_f64_e32 v[82:83], v[100:101], v[88:89]
	v_add_f64_e32 v[6:7], v[10:11], v[6:7]
	;; [unrolled: 1-line block ×6, first 2 shown]
	v_add_nc_u32_e32 v74, 0x1000, v170
	v_add_nc_u32_e32 v75, 0x1400, v170
	ds_load_b64 v[0:1], v171
	v_add3_u32 v63, 0, v176, v172
	v_add3_u32 v62, 0, v108, v172
	v_add_f64_e32 v[4:5], v[4:5], v[80:81]
	v_add_f64_e32 v[84:85], v[76:77], v[40:41]
	v_add_nc_u32_e32 v76, 0x1800, v170
	v_add_f64_e32 v[90:91], v[102:103], v[58:59]
	v_add_f64_e32 v[88:89], v[60:61], v[14:15]
	;; [unrolled: 1-line block ×3, first 2 shown]
	v_add_nc_u32_e32 v77, 0x600, v170
	v_add_f64_e32 v[82:83], v[104:105], v[82:83]
	v_add_f64_e32 v[96:97], v[16:17], v[6:7]
	;; [unrolled: 1-line block ×5, first 2 shown]
	v_lshlrev_b32_e32 v4, 3, v174
	v_lshlrev_b32_e32 v5, 3, v175
	s_delay_alu instid0(VALU_DEP_2) | instskip(NEXT) | instid1(VALU_DEP_2)
	v_add3_u32 v72, 0, v4, v172
	v_add3_u32 v73, 0, v5, v172
	ds_load_2addr_b64 v[8:11], v74 offset0:27 offset1:104
	ds_load_2addr_b64 v[4:7], v75 offset0:53 offset1:130
	;; [unrolled: 1-line block ×4, first 2 shown]
	ds_load_b64 v[58:59], v72
	ds_load_b64 v[40:41], v73
	;; [unrolled: 1-line block ×4, first 2 shown]
	ds_load_b64 v[56:57], v170 offset:8008
	global_wb scope:SCOPE_SE
	s_wait_dscnt 0x0
	s_barrier_signal -1
	s_barrier_wait -1
	global_inv scope:SCOPE_SE
	ds_store_2addr_b64 v87, v[84:85], v[90:91] offset0:4 offset1:6
	ds_store_2addr_b64 v87, v[82:83], v[94:95] offset0:8 offset1:10
	;; [unrolled: 1-line block ×4, first 2 shown]
	ds_store_2addr_b64 v87, v[78:79], v[80:81] offset1:2
	ds_store_b64 v87, v[100:101] offset:160
	s_and_saveexec_b32 s33, s0
	s_cbranch_execz .LBB0_20
; %bb.19:
	v_add_f64_e32 v[78:79], v[2:3], v[70:71]
	v_add_f64_e64 v[54:55], v[68:69], -v[54:55]
	s_mov_b32 s26, 0xf8bb580b
	s_mov_b32 s27, 0xbfe14ced
	s_mov_b32 s13, 0xbfed1bb4
	s_mov_b32 s12, 0x8eee2c13
	s_mov_b32 s18, 0xbb3a28a1
	s_mov_b32 s22, 0xfd768dbf
	s_mov_b32 s19, 0xbfe82f19
	s_mov_b32 s23, 0xbfd207e7
	v_add_f64_e32 v[70:71], v[70:71], v[22:23]
	v_add_f64_e64 v[48:49], v[66:67], -v[48:49]
	s_mov_b32 s10, 0x8764f0ba
	s_mov_b32 s0, 0xd9c712b6
	;; [unrolled: 1-line block ×10, first 2 shown]
	s_wait_alu 0xfffe
	s_mov_b32 s34, s22
	s_mov_b32 s30, s14
	s_mov_b32 s28, s26
	s_mov_b32 s24, 0x9bcd5057
	s_mov_b32 s21, 0xbfe4f49e
	s_mov_b32 s25, 0xbfeeb42a
	v_add_f64_e64 v[46:47], v[64:65], -v[46:47]
	v_add_f64_e64 v[44:45], v[44:45], -v[50:51]
	v_add_f64_e64 v[32:33], v[32:33], -v[34:35]
	v_add_f64_e32 v[78:79], v[78:79], v[52:53]
	v_mul_f64_e32 v[66:67], s[26:27], v[54:55]
	v_mul_f64_e32 v[80:81], s[14:15], v[54:55]
	;; [unrolled: 1-line block ×3, first 2 shown]
	v_add_f64_e32 v[52:53], v[52:53], v[20:21]
	v_mul_f64_e32 v[64:65], s[12:13], v[48:49]
	v_mul_f64_e32 v[84:85], s[18:19], v[48:49]
	s_wait_alu 0xfffe
	v_mul_f64_e32 v[87:88], s[34:35], v[48:49]
	v_mul_f64_e32 v[89:90], s[30:31], v[48:49]
	;; [unrolled: 1-line block ×8, first 2 shown]
	v_add_f64_e32 v[68:69], v[78:79], v[42:43]
	v_mul_f64_e32 v[78:79], s[12:13], v[54:55]
	v_mul_f64_e32 v[54:55], s[22:23], v[54:55]
	v_fma_f64 v[91:92], v[70:71], s[10:11], v[66:67]
	v_fma_f64 v[95:96], v[70:71], s[4:5], v[80:81]
	;; [unrolled: 1-line block ×3, first 2 shown]
	v_fma_f64 v[82:83], v[70:71], s[20:21], -v[82:83]
	v_fma_f64 v[80:81], v[70:71], s[4:5], -v[80:81]
	;; [unrolled: 1-line block ×3, first 2 shown]
	s_mov_b32 s13, 0x3fed1bb4
	v_add_f64_e32 v[42:43], v[42:43], v[24:25]
	v_fma_f64 v[105:106], v[52:53], s[0:1], v[64:65]
	v_fma_f64 v[64:65], v[52:53], s[0:1], -v[64:65]
	v_fma_f64 v[107:108], v[52:53], s[20:21], v[84:85]
	v_fma_f64 v[84:85], v[52:53], s[20:21], -v[84:85]
	;; [unrolled: 2-line block ×5, first 2 shown]
	v_add_f64_e32 v[68:69], v[68:69], v[36:37]
	v_fma_f64 v[93:94], v[70:71], s[0:1], v[78:79]
	v_fma_f64 v[78:79], v[70:71], s[0:1], -v[78:79]
	v_fma_f64 v[99:100], v[70:71], s[24:25], v[54:55]
	v_fma_f64 v[54:55], v[70:71], s[24:25], -v[54:55]
	v_mul_f64_e32 v[70:71], s[34:35], v[46:47]
	s_wait_alu 0xfffe
	v_mul_f64_e32 v[46:47], s[12:13], v[46:47]
	v_add_f64_e32 v[52:53], v[2:3], v[91:92]
	v_add_f64_e32 v[82:83], v[2:3], v[82:83]
	;; [unrolled: 1-line block ×4, first 2 shown]
	v_fma_f64 v[117:118], v[42:43], s[4:5], v[50:51]
	v_fma_f64 v[50:51], v[42:43], s[4:5], -v[50:51]
	v_fma_f64 v[121:122], v[42:43], s[10:11], v[101:102]
	v_fma_f64 v[101:102], v[42:43], s[10:11], -v[101:102]
	;; [unrolled: 2-line block ×3, first 2 shown]
	v_add_f64_e32 v[68:69], v[68:69], v[26:27]
	v_add_f64_e32 v[91:92], v[2:3], v[93:94]
	;; [unrolled: 1-line block ×8, first 2 shown]
	v_mul_f64_e32 v[66:67], s[30:31], v[44:45]
	v_mul_f64_e32 v[99:100], s[26:27], v[44:45]
	;; [unrolled: 1-line block ×3, first 2 shown]
	v_fma_f64 v[119:120], v[42:43], s[24:25], v[70:71]
	v_fma_f64 v[70:71], v[42:43], s[24:25], -v[70:71]
	v_fma_f64 v[125:126], v[42:43], s[0:1], v[46:47]
	v_fma_f64 v[42:43], v[42:43], s[0:1], -v[46:47]
	v_add_f64_e32 v[46:47], v[105:106], v[52:53]
	v_add_f64_e32 v[82:83], v[89:90], v[82:83]
	;; [unrolled: 1-line block ×3, first 2 shown]
	v_fma_f64 v[105:106], v[36:37], s[24:25], -v[115:116]
	v_add_f64_e32 v[68:69], v[68:69], v[28:29]
	v_add_f64_e32 v[52:53], v[107:108], v[91:92]
	;; [unrolled: 1-line block ×9, first 2 shown]
	v_mul_f64_e32 v[28:29], s[22:23], v[32:33]
	v_mul_f64_e32 v[64:65], s[28:29], v[32:33]
	;; [unrolled: 1-line block ×3, first 2 shown]
	v_fma_f64 v[87:88], v[36:37], s[20:21], v[34:35]
	v_fma_f64 v[34:35], v[36:37], s[20:21], -v[34:35]
	v_fma_f64 v[93:94], v[36:37], s[4:5], v[66:67]
	v_fma_f64 v[66:67], v[36:37], s[4:5], -v[66:67]
	;; [unrolled: 2-line block ×3, first 2 shown]
	v_fma_f64 v[99:100], v[36:37], s[24:25], v[115:116]
	v_fma_f64 v[107:108], v[36:37], s[0:1], v[44:45]
	v_fma_f64 v[36:37], v[36:37], s[0:1], -v[44:45]
	v_add_f64_e32 v[44:45], v[117:118], v[46:47]
	v_add_f64_e32 v[82:83], v[101:102], v[82:83]
	;; [unrolled: 1-line block ×3, first 2 shown]
	v_mul_f64_e32 v[68:69], s[18:19], v[32:33]
	v_mul_f64_e32 v[32:33], s[12:13], v[32:33]
	v_add_f64_e32 v[46:47], v[119:120], v[52:53]
	v_add_f64_e32 v[52:53], v[70:71], v[78:79]
	;; [unrolled: 1-line block ×8, first 2 shown]
	v_fma_f64 v[50:51], v[26:27], s[10:11], v[64:65]
	v_fma_f64 v[54:55], v[26:27], s[10:11], -v[64:65]
	v_fma_f64 v[89:90], v[26:27], s[4:5], v[80:81]
	v_fma_f64 v[80:81], v[26:27], s[4:5], -v[80:81]
	v_add_f64_e32 v[24:25], v[30:31], v[24:25]
	v_fma_f64 v[30:31], v[26:27], s[24:25], v[28:29]
	v_fma_f64 v[28:29], v[26:27], s[24:25], -v[28:29]
	v_fma_f64 v[64:65], v[26:27], s[20:21], v[68:69]
	v_fma_f64 v[68:69], v[26:27], s[20:21], -v[68:69]
	;; [unrolled: 2-line block ×3, first 2 shown]
	v_add_f64_e32 v[32:33], v[87:88], v[44:45]
	v_add_f64_e32 v[44:45], v[93:94], v[46:47]
	;; [unrolled: 1-line block ×22, first 2 shown]
	v_mul_lo_u32 v22, v86, 22
	s_delay_alu instid0(VALU_DEP_1) | instskip(NEXT) | instid1(VALU_DEP_1)
	v_or_b32_e32 v22, v22, v177
	v_lshlrev_b32_e32 v22, 3, v22
	s_delay_alu instid0(VALU_DEP_1)
	v_add3_u32 v22, 0, v22, v172
	ds_store_2addr_b64 v22, v[30:31], v[34:35] offset0:4 offset1:6
	ds_store_2addr_b64 v22, v[44:45], v[46:47] offset0:8 offset1:10
	;; [unrolled: 1-line block ×4, first 2 shown]
	ds_store_2addr_b64 v22, v[20:21], v[24:25] offset1:2
	ds_store_b64 v22, v[2:3] offset:160
.LBB0_20:
	s_or_b32 exec_lo, exec_lo, s33
	v_lshrrev_b16 v2, 1, v168
	v_lshrrev_b16 v3, 1, v169
	global_wb scope:SCOPE_SE
	s_wait_dscnt 0x0
	s_barrier_signal -1
	s_barrier_wait -1
	v_and_b32_e32 v2, 0x7f, v2
	v_and_b32_e32 v3, 0x7f, v3
	global_inv scope:SCOPE_SE
	s_mov_b32 s14, 0x37e14327
	s_mov_b32 s18, 0xe976ee23
	v_mul_lo_u16 v2, 0xbb, v2
	v_mul_lo_u16 v3, 0xbb, v3
	s_mov_b32 s15, 0x3fe948f6
	s_mov_b32 s10, 0x36b3c0b5
	s_mov_b32 s19, 0xbfe11646
	v_lshrrev_b16 v132, 11, v2
	v_lshrrev_b16 v133, 11, v3
	s_mov_b32 s4, 0x429ad128
	s_mov_b32 s11, 0x3fac98ee
	;; [unrolled: 1-line block ×3, first 2 shown]
	v_mul_lo_u16 v2, v132, 22
	v_mul_lo_u16 v3, v133, 22
	s_mov_b32 s0, 0xaaaaaaaa
	s_mov_b32 s24, 0xb247c609
	;; [unrolled: 1-line block ×3, first 2 shown]
	v_sub_nc_u16 v2, v168, v2
	v_sub_nc_u16 v3, v169, v3
	s_mov_b32 s12, 0x5476071b
	s_mov_b32 s25, 0x3fd5d0dc
	;; [unrolled: 1-line block ×3, first 2 shown]
	v_and_b32_e32 v134, 0xff, v2
	v_and_b32_e32 v135, 0xff, v3
	s_mov_b32 s21, 0xbfe77f67
	s_mov_b32 s23, 0xbfd5d0dc
	s_wait_alu 0xfffe
	s_mov_b32 s20, s12
	v_mul_u32_u24_e32 v2, 6, v134
	v_mul_u32_u24_e32 v3, 6, v135
	s_mov_b32 s22, s24
	s_mov_b32 s26, 0x37c3f68c
	;; [unrolled: 1-line block ×3, first 2 shown]
	v_lshlrev_b32_e32 v2, 4, v2
	v_lshlrev_b32_e32 v3, 4, v3
	s_clause 0xb
	global_load_b128 v[20:23], v2, s[8:9] offset:320
	global_load_b128 v[24:27], v2, s[8:9] offset:336
	;; [unrolled: 1-line block ×12, first 2 shown]
	ds_load_b64 v[2:3], v62
	ds_load_b64 v[36:37], v72
	ds_load_2addr_b64 v[90:93], v76 offset0:79 offset1:156
	ds_load_2addr_b64 v[94:97], v75 offset0:53 offset1:130
	;; [unrolled: 1-line block ×3, first 2 shown]
	ds_load_b64 v[54:55], v170 offset:8008
	ds_load_2addr_b64 v[102:105], v74 offset0:27 offset1:104
	ds_load_b64 v[116:117], v73
	s_wait_loadcnt_dscnt 0xb07
	v_mul_f64_e32 v[106:107], v[2:3], v[22:23]
	s_wait_loadcnt_dscnt 0xa06
	v_mul_f64_e32 v[108:109], v[36:37], v[26:27]
	;; [unrolled: 2-line block ×3, first 2 shown]
	v_mul_f64_e32 v[22:23], v[60:61], v[22:23]
	v_mul_f64_e32 v[26:27], v[58:59], v[26:27]
	;; [unrolled: 1-line block ×3, first 2 shown]
	s_wait_loadcnt_dscnt 0x804
	v_mul_f64_e32 v[112:113], v[96:97], v[34:35]
	s_wait_loadcnt_dscnt 0x703
	v_mul_f64_e32 v[114:115], v[98:99], v[44:45]
	s_wait_loadcnt 0x6
	v_mul_f64_e32 v[118:119], v[100:101], v[48:49]
	s_wait_loadcnt_dscnt 0x201
	v_mul_f64_e32 v[128:129], v[104:105], v[80:81]
	v_mul_f64_e32 v[80:81], v[10:11], v[80:81]
	;; [unrolled: 1-line block ×9, first 2 shown]
	s_wait_loadcnt 0x1
	v_mul_f64_e32 v[130:131], v[102:103], v[84:85]
	v_mul_f64_e32 v[84:85], v[8:9], v[84:85]
	v_fma_f64 v[60:61], v[60:61], v[20:21], -v[106:107]
	v_fma_f64 v[58:59], v[58:59], v[24:25], -v[108:109]
	;; [unrolled: 1-line block ×3, first 2 shown]
	v_fma_f64 v[2:3], v[2:3], v[20:21], v[22:23]
	v_fma_f64 v[20:21], v[36:37], v[24:25], v[26:27]
	;; [unrolled: 1-line block ×3, first 2 shown]
	v_fma_f64 v[6:7], v[6:7], v[32:33], -v[112:113]
	s_wait_loadcnt 0x0
	v_mul_f64_e32 v[106:107], v[94:95], v[88:89]
	v_mul_f64_e32 v[88:89], v[4:5], v[88:89]
	v_fma_f64 v[16:17], v[16:17], v[42:43], -v[114:115]
	v_fma_f64 v[30:31], v[104:105], v[78:79], v[80:81]
	ds_load_b64 v[80:81], v171
	ds_load_b64 v[124:125], v63
	s_wait_dscnt 0x2
	v_mul_f64_e32 v[126:127], v[116:117], v[70:71]
	v_mul_f64_e32 v[70:71], v[40:41], v[70:71]
	v_fma_f64 v[18:19], v[18:19], v[46:47], -v[118:119]
	v_fma_f64 v[56:57], v[56:57], v[50:51], -v[120:121]
	;; [unrolled: 1-line block ×3, first 2 shown]
	v_fma_f64 v[28:29], v[96:97], v[32:33], v[34:35]
	v_fma_f64 v[32:33], v[98:99], v[42:43], v[44:45]
	;; [unrolled: 1-line block ×4, first 2 shown]
	v_fma_f64 v[10:11], v[10:11], v[78:79], -v[128:129]
	v_fma_f64 v[8:9], v[8:9], v[82:83], -v[130:131]
	v_fma_f64 v[42:43], v[102:103], v[82:83], v[84:85]
	global_wb scope:SCOPE_SE
	s_wait_dscnt 0x0
	s_barrier_signal -1
	s_barrier_wait -1
	global_inv scope:SCOPE_SE
	v_add_f64_e32 v[44:45], v[60:61], v[14:15]
	v_add_f64_e64 v[14:15], v[60:61], -v[14:15]
	v_add_f64_e32 v[54:55], v[2:3], v[26:27]
	v_add_f64_e32 v[46:47], v[58:59], v[6:7]
	v_fma_f64 v[4:5], v[4:5], v[86:87], -v[106:107]
	v_fma_f64 v[48:49], v[94:95], v[86:87], v[88:89]
	v_add_f64_e64 v[2:3], v[2:3], -v[26:27]
	v_add_f64_e64 v[6:7], v[58:59], -v[6:7]
	v_fma_f64 v[22:23], v[40:41], v[68:69], -v[126:127]
	v_fma_f64 v[40:41], v[90:91], v[64:65], v[66:67]
	v_fma_f64 v[24:25], v[116:117], v[68:69], v[70:71]
	v_add_f64_e32 v[50:51], v[16:17], v[56:57]
	v_add_f64_e32 v[52:53], v[18:19], v[12:13]
	;; [unrolled: 1-line block ×3, first 2 shown]
	v_add_f64_e64 v[20:21], v[20:21], -v[28:29]
	v_add_f64_e64 v[12:13], v[18:19], -v[12:13]
	v_add_f64_e32 v[68:69], v[32:33], v[36:37]
	v_add_f64_e64 v[32:33], v[32:33], -v[36:37]
	v_add_f64_e64 v[78:79], v[48:49], -v[42:43]
	;; [unrolled: 1-line block ×3, first 2 shown]
	v_add_f64_e32 v[28:29], v[22:23], v[10:11]
	v_add_f64_e32 v[70:71], v[34:35], v[40:41]
	v_add_f64_e64 v[66:67], v[30:31], -v[24:25]
	v_add_f64_e64 v[26:27], v[34:35], -v[40:41]
	v_add_f64_e32 v[34:35], v[46:47], v[44:45]
	v_add_f64_e32 v[40:41], v[8:9], v[4:5]
	;; [unrolled: 1-line block ×4, first 2 shown]
	v_add_f64_e64 v[10:11], v[10:11], -v[22:23]
	v_add_f64_e32 v[18:19], v[64:65], v[54:55]
	v_add_f64_e32 v[22:23], v[42:43], v[48:49]
	v_add_f64_e64 v[4:5], v[4:5], -v[8:9]
	v_add_f64_e64 v[8:9], v[16:17], -v[56:57]
	;; [unrolled: 1-line block ×4, first 2 shown]
	v_add_f64_e32 v[48:49], v[70:71], v[68:69]
	v_add_f64_e64 v[30:31], v[28:29], -v[46:47]
	v_add_f64_e64 v[42:43], v[66:67], -v[20:21]
	v_add_f64_e32 v[28:29], v[28:29], v[34:35]
	v_add_f64_e64 v[34:35], v[50:51], -v[40:41]
	v_add_f64_e64 v[58:59], v[78:79], -v[26:27]
	;; [unrolled: 3-line block ×3, first 2 shown]
	v_add_f64_e64 v[44:45], v[46:47], -v[44:45]
	v_add_f64_e64 v[46:47], v[54:55], -v[24:25]
	v_add_f64_e32 v[20:21], v[66:67], v[20:21]
	v_add_f64_e64 v[84:85], v[10:11], -v[6:7]
	v_add_f64_e32 v[18:19], v[24:25], v[18:19]
	;; [unrolled: 2-line block ×3, first 2 shown]
	v_add_f64_e64 v[88:89], v[68:69], -v[22:23]
	v_add_f64_e64 v[90:91], v[22:23], -v[70:71]
	v_add_f64_e64 v[24:25], v[4:5], -v[12:13]
	v_add_f64_e64 v[92:93], v[12:13], -v[8:9]
	v_add_f64_e64 v[66:67], v[2:3], -v[66:67]
	v_add_f64_e64 v[50:51], v[52:53], -v[50:51]
	v_add_f64_e64 v[54:55], v[64:65], -v[54:55]
	v_add_f64_e32 v[6:7], v[10:11], v[6:7]
	v_add_f64_e64 v[10:11], v[14:15], -v[10:11]
	v_add_f64_e64 v[64:65], v[70:71], -v[68:69]
	v_add_f64_e32 v[12:13], v[4:5], v[12:13]
	v_mul_f64_e32 v[70:71], s[4:5], v[86:87]
	v_add_f64_e64 v[4:5], v[8:9], -v[4:5]
	v_mul_f64_e32 v[16:17], s[14:15], v[16:17]
	v_add_f64_e32 v[22:23], v[22:23], v[48:49]
	v_mul_f64_e32 v[94:95], s[10:11], v[30:31]
	v_mul_f64_e32 v[42:43], s[18:19], v[42:43]
	v_add_f64_e32 v[0:1], v[0:1], v[28:29]
	v_add_f64_e64 v[48:49], v[32:33], -v[78:79]
	v_mul_f64_e32 v[78:79], s[4:5], v[56:57]
	v_mul_f64_e32 v[34:35], s[14:15], v[34:35]
	;; [unrolled: 1-line block ×3, first 2 shown]
	v_add_f64_e32 v[38:39], v[38:39], v[36:37]
	v_mul_f64_e32 v[96:97], s[4:5], v[60:61]
	v_mul_f64_e32 v[52:53], s[10:11], v[40:41]
	;; [unrolled: 1-line block ×3, first 2 shown]
	v_add_f64_e32 v[2:3], v[20:21], v[2:3]
	v_mul_f64_e32 v[20:21], s[18:19], v[84:85]
	v_add_f64_e32 v[80:81], v[80:81], v[18:19]
	v_mul_f64_e32 v[68:69], s[10:11], v[82:83]
	;; [unrolled: 2-line block ×3, first 2 shown]
	v_mul_f64_e32 v[84:85], s[10:11], v[90:91]
	v_mul_f64_e32 v[24:25], s[18:19], v[24:25]
	v_mul_f64_e32 v[88:89], s[4:5], v[92:93]
	v_add_f64_e32 v[6:7], v[6:7], v[14:15]
	v_add_f64_e32 v[8:9], v[12:13], v[8:9]
	v_fma_f64 v[30:31], v[30:31], s[10:11], v[16:17]
	v_add_f64_e32 v[100:101], v[124:125], v[22:23]
	v_fma_f64 v[94:95], v[44:45], s[12:13], -v[94:95]
	v_fma_f64 v[98:99], v[66:67], s[24:25], v[42:43]
	v_fma_f64 v[28:29], v[28:29], s[0:1], v[0:1]
	v_fma_f64 v[42:43], v[56:57], s[4:5], -v[42:43]
	s_wait_alu 0xfffe
	v_fma_f64 v[56:57], v[66:67], s[22:23], -v[78:79]
	v_fma_f64 v[16:17], v[44:45], s[20:21], -v[16:17]
	v_fma_f64 v[40:41], v[40:41], s[10:11], v[34:35]
	v_fma_f64 v[44:45], v[48:49], s[24:25], v[58:59]
	;; [unrolled: 1-line block ×3, first 2 shown]
	v_fma_f64 v[58:59], v[60:61], s[4:5], -v[58:59]
	v_fma_f64 v[48:49], v[48:49], s[22:23], -v[96:97]
	;; [unrolled: 1-line block ×4, first 2 shown]
	v_fma_f64 v[12:13], v[82:83], s[10:11], v[46:47]
	v_fma_f64 v[52:53], v[10:11], s[24:25], v[20:21]
	v_fma_f64 v[20:21], v[86:87], s[4:5], -v[20:21]
	v_fma_f64 v[10:11], v[10:11], s[22:23], -v[70:71]
	v_fma_f64 v[18:19], v[18:19], s[0:1], v[80:81]
	v_fma_f64 v[14:15], v[54:55], s[12:13], -v[68:69]
	v_fma_f64 v[46:47], v[54:55], s[20:21], -v[46:47]
	;; [unrolled: 3-line block ×4, first 2 shown]
	v_fma_f64 v[22:23], v[22:23], s[0:1], v[100:101]
	v_fma_f64 v[66:67], v[2:3], s[26:27], v[98:99]
	v_add_f64_e32 v[30:31], v[30:31], v[28:29]
	v_fma_f64 v[42:43], v[2:3], s[26:27], v[42:43]
	v_fma_f64 v[2:3], v[2:3], s[26:27], v[56:57]
	v_add_f64_e32 v[16:17], v[16:17], v[28:29]
	v_add_f64_e32 v[28:29], v[94:95], v[28:29]
	v_fma_f64 v[44:45], v[26:27], s[26:27], v[44:45]
	v_add_f64_e32 v[40:41], v[40:41], v[36:37]
	v_fma_f64 v[56:57], v[26:27], s[26:27], v[58:59]
	v_fma_f64 v[26:27], v[26:27], s[26:27], v[48:49]
	v_add_f64_e32 v[34:35], v[34:35], v[36:37]
	v_add_f64_e32 v[36:37], v[50:51], v[36:37]
	v_fma_f64 v[48:49], v[6:7], s[26:27], v[52:53]
	v_fma_f64 v[20:21], v[6:7], s[26:27], v[20:21]
	;; [unrolled: 1-line block ×3, first 2 shown]
	v_add_f64_e32 v[10:11], v[12:13], v[18:19]
	v_add_f64_e32 v[14:15], v[14:15], v[18:19]
	;; [unrolled: 1-line block ×3, first 2 shown]
	v_fma_f64 v[18:19], v[8:9], s[26:27], v[64:65]
	v_fma_f64 v[24:25], v[8:9], s[26:27], v[24:25]
	;; [unrolled: 1-line block ×3, first 2 shown]
	v_add_f64_e32 v[8:9], v[54:55], v[22:23]
	v_add_f64_e32 v[32:33], v[32:33], v[22:23]
	;; [unrolled: 1-line block ×5, first 2 shown]
	v_add_f64_e64 v[52:53], v[28:29], -v[42:43]
	v_add_f64_e32 v[28:29], v[42:43], v[28:29]
	v_add_f64_e64 v[2:3], v[16:17], -v[2:3]
	v_add_f64_e64 v[16:17], v[30:31], -v[66:67]
	v_add_f64_e32 v[30:31], v[44:45], v[40:41]
	v_add_f64_e32 v[42:43], v[26:27], v[34:35]
	v_add_f64_e64 v[54:55], v[36:37], -v[56:57]
	v_add_f64_e32 v[36:37], v[56:57], v[36:37]
	v_add_f64_e64 v[26:27], v[34:35], -v[26:27]
	v_add_f64_e64 v[34:35], v[40:41], -v[44:45]
	v_and_b32_e32 v40, 0xffff, v132
	v_and_b32_e32 v41, 0xffff, v133
	v_lshlrev_b32_e32 v44, 3, v134
	v_lshlrev_b32_e32 v45, 3, v135
	v_add_f64_e32 v[56:57], v[20:21], v[14:15]
	v_mad_u32_u24 v40, 0x4d0, v40, 0
	v_mad_u32_u24 v41, 0x4d0, v41, 0
	v_add_f64_e64 v[58:59], v[14:15], -v[20:21]
	v_add_f64_e32 v[60:61], v[6:7], v[12:13]
	s_delay_alu instid0(VALU_DEP_4) | instskip(NEXT) | instid1(VALU_DEP_4)
	v_add3_u32 v82, v40, v44, v172
	v_add3_u32 v83, v41, v45, v172
	v_add_f64_e64 v[40:41], v[10:11], -v[48:49]
	v_add_f64_e64 v[44:45], v[12:13], -v[6:7]
	v_add_f64_e32 v[48:49], v[48:49], v[10:11]
	ds_store_2addr_b64 v82, v[0:1], v[46:47] offset1:22
	ds_store_2addr_b64 v82, v[50:51], v[52:53] offset0:44 offset1:66
	ds_store_2addr_b64 v82, v[28:29], v[2:3] offset0:88 offset1:110
	ds_store_b64 v82, v[16:17] offset:1056
	ds_store_2addr_b64 v83, v[38:39], v[30:31] offset1:22
	ds_store_2addr_b64 v83, v[42:43], v[54:55] offset0:44 offset1:66
	ds_store_2addr_b64 v83, v[36:37], v[26:27] offset0:88 offset1:110
	ds_store_b64 v83, v[34:35] offset:1056
	v_add_f64_e64 v[64:65], v[8:9], -v[18:19]
	v_add_f64_e64 v[66:67], v[32:33], -v[4:5]
	v_add_f64_e32 v[68:69], v[24:25], v[22:23]
	v_add_f64_e64 v[70:71], v[22:23], -v[24:25]
	v_add_f64_e32 v[32:33], v[4:5], v[32:33]
	v_add_f64_e32 v[78:79], v[18:19], v[8:9]
	global_wb scope:SCOPE_SE
	s_wait_dscnt 0x0
	s_barrier_signal -1
	s_barrier_wait -1
	global_inv scope:SCOPE_SE
	ds_load_b64 v[18:19], v171
	ds_load_b64 v[24:25], v72
	ds_load_2addr_b64 v[0:3], v74 offset0:27 offset1:104
	ds_load_2addr_b64 v[4:7], v75 offset0:53 offset1:130
	;; [unrolled: 1-line block ×3, first 2 shown]
	ds_load_b64 v[20:21], v73
	ds_load_b64 v[16:17], v63
	ds_load_2addr_b64 v[12:15], v77 offset0:39 offset1:193
	ds_load_b64 v[26:27], v62
	ds_load_b64 v[22:23], v170 offset:8008
	global_wb scope:SCOPE_SE
	s_wait_dscnt 0x0
	s_barrier_signal -1
	s_barrier_wait -1
	global_inv scope:SCOPE_SE
	ds_store_2addr_b64 v82, v[80:81], v[40:41] offset1:22
	ds_store_2addr_b64 v82, v[44:45], v[56:57] offset0:44 offset1:66
	ds_store_2addr_b64 v82, v[58:59], v[60:61] offset0:88 offset1:110
	ds_store_b64 v82, v[48:49] offset:1056
	ds_store_2addr_b64 v83, v[100:101], v[64:65] offset1:22
	ds_store_2addr_b64 v83, v[66:67], v[68:69] offset0:44 offset1:66
	ds_store_2addr_b64 v83, v[70:71], v[32:33] offset0:88 offset1:110
	ds_store_b64 v83, v[78:79] offset:1056
	global_wb scope:SCOPE_SE
	s_wait_dscnt 0x0
	s_barrier_signal -1
	s_barrier_wait -1
	global_inv scope:SCOPE_SE
	s_and_saveexec_b32 s28, vcc_lo
	s_cbranch_execz .LBB0_22
; %bb.21:
	v_mul_u32_u24_e32 v28, 6, v168
	v_mul_i32_i24_e32 v40, 6, v169
	v_mad_co_u64_u32 v[86:87], null, s2, v164, 0
	v_add_nc_u32_e32 v108, 0x4d, v168
	s_delay_alu instid0(VALU_DEP_4) | instskip(SKIP_2) | instid1(VALU_DEP_4)
	v_dual_mov_b32 v41, 0 :: v_dual_lshlrev_b32 v68, 4, v28
	v_lshlrev_b64_e32 v[104:105], 4, v[162:163]
	v_add_nc_u32_e32 v88, 0x600, v170
	v_mul_hi_u32 v89, 0x3531dec1, v108
	s_clause 0x2
	global_load_b128 v[28:31], v68, s[8:9] offset:2448
	global_load_b128 v[32:35], v68, s[8:9] offset:2496
	;; [unrolled: 1-line block ×3, first 2 shown]
	v_lshlrev_b64_e32 v[44:45], 4, v[40:41]
	global_load_b128 v[40:43], v68, s[8:9] offset:2512
	v_add_nc_u32_e32 v90, 0x1800, v170
	v_lshrrev_b32_e32 v127, 5, v89
	v_add_co_u32 v60, vcc_lo, s8, v44
	s_wait_alu 0xfffd
	v_add_co_ci_u32_e32 v61, vcc_lo, s9, v45, vcc_lo
	s_delay_alu instid0(VALU_DEP_3)
	v_mul_lo_u32 v110, 0x9a, v127
	s_clause 0x7
	global_load_b128 v[44:47], v[60:61], off offset:2448
	global_load_b128 v[48:51], v[60:61], off offset:2496
	;; [unrolled: 1-line block ×4, first 2 shown]
	global_load_b128 v[64:67], v68, s[8:9] offset:2480
	global_load_b128 v[68:71], v68, s[8:9] offset:2464
	global_load_b128 v[74:77], v[60:61], off offset:2480
	global_load_b128 v[78:81], v[60:61], off offset:2464
	ds_load_b64 v[94:95], v63
	ds_load_b64 v[96:97], v73
	v_mul_hi_u32 v63, 0x3531dec1, v168
	v_mul_lo_u32 v60, s3, v164
	v_mul_lo_u32 v61, s2, v165
	ds_load_b64 v[72:73], v72
	ds_load_b64 v[98:99], v62
	ds_load_b64 v[100:101], v170 offset:8008
	ds_load_b64 v[102:103], v171
	v_lshrrev_b32_e32 v91, 5, v63
	v_add3_u32 v87, v87, v61, v60
	s_delay_alu instid0(VALU_DEP_2) | instskip(NEXT) | instid1(VALU_DEP_2)
	v_mul_lo_u32 v109, 0x9a, v91
	v_lshlrev_b64_e32 v[106:107], 4, v[86:87]
	s_delay_alu instid0(VALU_DEP_1) | instskip(NEXT) | instid1(VALU_DEP_3)
	v_add_co_u32 v106, vcc_lo, s6, v106
	v_sub_nc_u32_e32 v136, v168, v109
	s_wait_alu 0xfffd
	s_delay_alu instid0(VALU_DEP_3) | instskip(NEXT) | instid1(VALU_DEP_3)
	v_add_co_ci_u32_e32 v107, vcc_lo, s7, v107, vcc_lo
	v_add_co_u32 v142, vcc_lo, v106, v104
	s_delay_alu instid0(VALU_DEP_3) | instskip(SKIP_1) | instid1(VALU_DEP_3)
	v_add_nc_u32_e32 v144, 0x9a, v136
	s_wait_alu 0xfffd
	v_add_co_ci_u32_e32 v143, vcc_lo, v107, v105, vcc_lo
	v_sub_nc_u32_e32 v106, v108, v110
	v_add_nc_u32_e32 v145, 0x134, v136
	v_mad_co_u64_u32 v[107:108], null, s16, v144, 0
	v_add_nc_u32_e32 v146, 0x1ce, v136
	v_mad_co_u64_u32 v[104:105], null, s16, v136, 0
	s_delay_alu instid0(VALU_DEP_4) | instskip(NEXT) | instid1(VALU_DEP_3)
	v_mad_co_u64_u32 v[109:110], null, s16, v145, 0
	v_mad_co_u64_u32 v[111:112], null, s16, v146, 0
	;; [unrolled: 1-line block ×3, first 2 shown]
	v_add_nc_u32_e32 v147, 0x268, v136
	v_mad_co_u64_u32 v[105:106], null, s17, v136, v[105:106]
	v_dual_mov_b32 v106, v108 :: v_dual_add_nc_u32 v83, 0x1000, v170
	v_add_nc_u32_e32 v148, 0x302, v136
	v_mov_b32_e32 v108, v110
	v_mov_b32_e32 v110, v112
	v_mad_co_u64_u32 v[121:122], null, s16, v147, 0
	v_add_nc_u32_e32 v149, 0x39c, v136
	v_mad_co_u64_u32 v[136:137], null, s16, v127, 0
	v_add_nc_u32_e32 v82, 0x1400, v170
	ds_load_2addr_b64 v[60:63], v82 offset0:53 offset1:130
	ds_load_2addr_b64 v[82:85], v83 offset0:27 offset1:104
	;; [unrolled: 1-line block ×4, first 2 shown]
	v_mad_co_u64_u32 v[123:124], null, s16, v148, 0
	v_mov_b32_e32 v112, v122
	v_mad_co_u64_u32 v[125:126], null, s16, v149, 0
	s_delay_alu instid0(VALU_DEP_3) | instskip(NEXT) | instid1(VALU_DEP_2)
	v_mov_b32_e32 v122, v124
	v_mov_b32_e32 v124, v126
	s_wait_loadcnt_dscnt 0xb07
	v_mul_f64_e32 v[113:114], v[72:73], v[30:31]
	s_wait_loadcnt_dscnt 0xa03
	v_mul_f64_e32 v[115:116], v[62:63], v[34:35]
	s_wait_loadcnt 0x9
	v_mul_f64_e32 v[117:118], v[98:99], v[38:39]
	v_mul_f64_e32 v[30:31], v[24:25], v[30:31]
	;; [unrolled: 1-line block ×4, first 2 shown]
	s_wait_loadcnt 0x8
	v_mul_f64_e32 v[119:120], v[10:11], v[42:43]
	s_wait_dscnt 0x0
	v_mul_f64_e32 v[42:43], v[92:93], v[42:43]
	s_wait_loadcnt 0x7
	v_mul_f64_e32 v[128:129], v[88:89], v[46:47]
	s_wait_loadcnt 0x6
	v_mul_f64_e32 v[130:131], v[90:91], v[50:51]
	v_mul_f64_e32 v[46:47], v[14:15], v[46:47]
	;; [unrolled: 1-line block ×3, first 2 shown]
	s_wait_loadcnt 0x5
	v_mul_f64_e32 v[132:133], v[12:13], v[54:55]
	s_wait_loadcnt 0x4
	v_mul_f64_e32 v[134:135], v[22:23], v[58:59]
	v_mul_f64_e32 v[54:55], v[86:87], v[54:55]
	v_mul_f64_e32 v[58:59], v[100:101], v[58:59]
	s_wait_loadcnt 0x3
	v_mul_f64_e32 v[138:139], v[84:85], v[66:67]
	v_mul_f64_e32 v[66:67], v[2:3], v[66:67]
	s_wait_loadcnt 0x2
	v_mul_f64_e32 v[140:141], v[96:97], v[70:71]
	v_mul_f64_e32 v[70:71], v[20:21], v[70:71]
	v_fma_f64 v[24:25], v[24:25], v[28:29], -v[113:114]
	v_fma_f64 v[6:7], v[6:7], v[32:33], -v[115:116]
	v_fma_f64 v[26:27], v[26:27], v[36:37], -v[117:118]
	v_fma_f64 v[28:29], v[28:29], v[72:73], v[30:31]
	v_fma_f64 v[30:31], v[32:33], v[62:63], v[34:35]
	;; [unrolled: 1-line block ×3, first 2 shown]
	s_wait_loadcnt 0x1
	v_mul_f64_e32 v[36:37], v[60:61], v[76:77]
	s_wait_loadcnt 0x0
	v_mul_f64_e32 v[38:39], v[82:83], v[80:81]
	v_fma_f64 v[34:35], v[40:41], v[92:93], v[119:120]
	v_fma_f64 v[10:11], v[10:11], v[40:41], -v[42:43]
	v_mul_f64_e32 v[40:41], v[0:1], v[80:81]
	v_mul_f64_e32 v[42:43], v[4:5], v[76:77]
	v_fma_f64 v[14:15], v[14:15], v[44:45], -v[128:129]
	v_add_nc_u32_e32 v129, 0x39c, v127
	v_fma_f64 v[44:45], v[44:45], v[88:89], v[46:47]
	v_fma_f64 v[46:47], v[48:49], v[90:91], v[50:51]
	;; [unrolled: 1-line block ×4, first 2 shown]
	v_fma_f64 v[8:9], v[8:9], v[48:49], -v[130:131]
	v_fma_f64 v[12:13], v[12:13], v[52:53], -v[54:55]
	;; [unrolled: 1-line block ×3, first 2 shown]
	v_add_nc_u32_e32 v113, 0x1ce, v127
	v_mad_co_u64_u32 v[52:53], null, s17, v145, v[108:109]
	v_mad_co_u64_u32 v[53:54], null, s17, v146, v[110:111]
	s_delay_alu instid0(VALU_DEP_3)
	v_mad_co_u64_u32 v[54:55], null, s17, v147, v[112:113]
	v_fma_f64 v[2:3], v[2:3], v[64:65], -v[138:139]
	v_fma_f64 v[57:58], v[64:65], v[84:85], v[66:67]
	v_mad_co_u64_u32 v[64:65], null, s17, v148, v[122:123]
	v_fma_f64 v[55:56], v[68:69], v[96:97], v[70:71]
	v_mad_co_u64_u32 v[65:66], null, s17, v149, v[124:125]
	v_fma_f64 v[20:21], v[20:21], v[68:69], -v[140:141]
	v_mad_co_u64_u32 v[48:49], null, s17, v144, v[106:107]
	v_mov_b32_e32 v49, v137
	v_add_f64_e32 v[70:71], v[24:25], v[6:7]
	v_mad_co_u64_u32 v[86:87], null, s16, v129, 0
	v_add_f64_e32 v[66:67], v[28:29], v[30:31]
	v_add_f64_e64 v[6:7], v[24:25], -v[6:7]
	v_fma_f64 v[4:5], v[4:5], v[74:75], -v[36:37]
	v_fma_f64 v[0:1], v[0:1], v[78:79], -v[38:39]
	v_add_f64_e32 v[68:69], v[32:33], v[34:35]
	v_add_f64_e32 v[72:73], v[26:27], v[10:11]
	v_fma_f64 v[36:37], v[78:79], v[82:83], v[40:41]
	v_fma_f64 v[38:39], v[74:75], v[60:61], v[42:43]
	v_mov_b32_e32 v108, v48
	v_add_f64_e64 v[10:11], v[26:27], -v[10:11]
	v_add_f64_e64 v[26:27], v[32:33], -v[34:35]
	v_add_f64_e32 v[74:75], v[44:45], v[46:47]
	v_mad_co_u64_u32 v[34:35], null, s17, v127, v[49:50]
	v_add_f64_e32 v[78:79], v[50:51], v[62:63]
	v_add_f64_e32 v[80:81], v[14:15], v[8:9]
	;; [unrolled: 1-line block ×3, first 2 shown]
	v_mad_co_u64_u32 v[42:43], null, s16, v113, 0
	v_add_f64_e64 v[8:9], v[14:15], -v[8:9]
	v_mov_b32_e32 v110, v52
	v_mov_b32_e32 v112, v53
	v_add_f64_e64 v[28:29], v[28:29], -v[30:31]
	v_add_f64_e64 v[12:13], v[12:13], -v[22:23]
	v_mov_b32_e32 v124, v64
	v_mov_b32_e32 v126, v65
	v_add_nc_u32_e32 v92, 0x9a, v127
	v_add_nc_u32_e32 v98, 0x134, v127
	v_add_f64_e32 v[24:25], v[57:58], v[55:56]
	v_lshlrev_b64_e32 v[64:65], 4, v[123:124]
	v_lshlrev_b64_e32 v[90:91], 4, v[125:126]
	v_add_f64_e64 v[52:53], v[2:3], -v[20:21]
	v_add_f64_e32 v[2:3], v[2:3], v[20:21]
	v_add_f64_e64 v[20:21], v[57:58], -v[55:56]
	v_mad_co_u64_u32 v[76:77], null, s16, v92, 0
	v_mad_co_u64_u32 v[40:41], null, s16, v98, 0
	v_lshlrev_b64_e32 v[56:57], 4, v[109:110]
	v_lshlrev_b64_e32 v[88:89], 4, v[104:105]
	v_mov_b32_e32 v122, v54
	v_add_f64_e64 v[48:49], v[4:5], -v[0:1]
	v_add_f64_e32 v[0:1], v[4:5], v[0:1]
	v_add_f64_e32 v[30:31], v[66:67], v[68:69]
	;; [unrolled: 1-line block ×4, first 2 shown]
	v_add_f64_e64 v[4:5], v[38:39], -v[36:37]
	v_add_f64_e64 v[35:36], v[44:45], -v[46:47]
	v_mov_b32_e32 v37, v43
	v_add_f64_e64 v[43:44], v[50:51], -v[62:63]
	v_mov_b32_e32 v50, v87
	v_mov_b32_e32 v22, v77
	v_add_f64_e32 v[38:39], v[74:75], v[78:79]
	v_mov_b32_e32 v23, v41
	v_add_f64_e32 v[45:46], v[80:81], v[82:83]
	v_mad_co_u64_u32 v[50:51], null, s17, v129, v[50:51]
	v_add_nc_u32_e32 v150, 0x302, v127
	s_delay_alu instid0(VALU_DEP_4)
	v_mad_co_u64_u32 v[92:93], null, s17, v92, v[22:23]
	v_lshlrev_b64_e32 v[54:55], 4, v[107:108]
	v_add_f64_e64 v[106:107], v[6:7], -v[10:11]
	v_add_f64_e64 v[108:109], v[28:29], -v[26:27]
	v_mov_b32_e32 v87, v50
	v_mad_co_u64_u32 v[84:85], null, s16, v150, 0
	v_mad_co_u64_u32 v[22:23], null, s17, v98, v[23:24]
	v_add_f64_e64 v[98:99], v[68:69], -v[24:25]
	v_add_f64_e64 v[96:97], v[52:53], -v[6:7]
	;; [unrolled: 1-line block ×4, first 2 shown]
	v_mov_b32_e32 v47, v85
	v_lshlrev_b64_e32 v[62:63], 4, v[121:122]
	v_add_f64_e64 v[122:123], v[8:9], -v[12:13]
	v_mov_b32_e32 v137, v34
	v_add_f64_e32 v[129:130], v[52:53], v[6:7]
	v_add_f64_e64 v[51:52], v[10:11], -v[52:53]
	v_add_f64_e32 v[28:29], v[20:21], v[28:29]
	v_mad_co_u64_u32 v[124:125], null, s17, v150, v[47:48]
	v_add_nc_u32_e32 v114, 0x268, v127
	v_add_f64_e32 v[30:31], v[24:25], v[30:31]
	v_add_f64_e32 v[32:33], v[2:3], v[32:33]
	v_add_f64_e64 v[23:24], v[24:25], -v[66:67]
	v_add_f64_e64 v[116:117], v[78:79], -v[14:15]
	;; [unrolled: 1-line block ×3, first 2 shown]
	v_mov_b32_e32 v85, v124
	v_mad_co_u64_u32 v[59:60], null, s16, v114, 0
	v_add_f64_e64 v[120:121], v[4:5], -v[35:36]
	v_add_f64_e64 v[125:126], v[14:15], -v[74:75]
	v_add_f64_e32 v[14:15], v[14:15], v[38:39]
	v_add_f64_e32 v[45:46], v[0:1], v[45:46]
	v_add_f64_e64 v[127:128], v[35:36], -v[43:44]
	v_add_f64_e64 v[20:21], v[26:27], -v[20:21]
	v_mov_b32_e32 v41, v60
	v_lshlrev_b64_e32 v[60:61], 4, v[111:112]
	v_mad_co_u64_u32 v[110:111], null, s17, v113, v[37:38]
	v_add_f64_e64 v[37:38], v[0:1], -v[80:81]
	s_delay_alu instid0(VALU_DEP_4)
	v_mad_co_u64_u32 v[111:112], null, s17, v114, v[41:42]
	v_add_f64_e64 v[112:113], v[2:3], -v[70:71]
	v_add_f64_e64 v[114:115], v[48:49], -v[8:9]
	v_add_f64_e32 v[8:9], v[48:49], v[8:9]
	v_add_f64_e32 v[34:35], v[4:5], v[35:36]
	v_mul_f64_e32 v[96:97], s[18:19], v[96:97]
	v_mul_f64_e32 v[98:99], s[14:15], v[98:99]
	;; [unrolled: 1-line block ×6, first 2 shown]
	v_add_f64_e64 v[66:67], v[66:67], -v[68:69]
	v_add_f64_e64 v[68:69], v[70:71], -v[72:73]
	;; [unrolled: 1-line block ×4, first 2 shown]
	v_add_co_u32 v88, vcc_lo, v142, v88
	s_wait_alu 0xfffd
	v_add_co_ci_u32_e32 v89, vcc_lo, v143, v89, vcc_lo
	v_add_f64_e32 v[2:3], v[102:103], v[30:31]
	v_add_f64_e32 v[0:1], v[18:19], v[32:33]
	v_mul_f64_e32 v[70:71], s[10:11], v[23:24]
	v_add_f64_e64 v[18:19], v[12:13], -v[48:49]
	v_add_f64_e64 v[47:48], v[43:44], -v[4:5]
	v_add_co_u32 v138, vcc_lo, v142, v54
	v_add_f64_e32 v[10:11], v[129:130], v[10:11]
	v_mul_f64_e32 v[79:80], s[10:11], v[125:126]
	v_add_f64_e32 v[6:7], v[94:95], v[14:15]
	v_add_f64_e32 v[4:5], v[16:17], v[45:46]
	v_mul_f64_e32 v[93:94], s[4:5], v[127:128]
	v_add_f64_e32 v[16:17], v[28:29], v[26:27]
	s_wait_alu 0xfffd
	v_add_co_ci_u32_e32 v139, vcc_lo, v143, v55, vcc_lo
	v_add_co_u32 v56, vcc_lo, v142, v56
	v_mul_f64_e32 v[81:82], s[10:11], v[37:38]
	s_wait_alu 0xfffd
	v_add_co_ci_u32_e32 v57, vcc_lo, v143, v57, vcc_lo
	v_mul_f64_e32 v[72:73], s[10:11], v[112:113]
	v_mul_f64_e32 v[102:103], s[18:19], v[114:115]
	;; [unrolled: 1-line block ×6, first 2 shown]
	v_add_f64_e32 v[8:9], v[8:9], v[12:13]
	v_add_f64_e32 v[12:13], v[34:35], v[43:44]
	v_fma_f64 v[25:26], v[51:52], s[24:25], v[96:97]
	v_fma_f64 v[23:24], v[23:24], s[10:11], v[98:99]
	;; [unrolled: 1-line block ×4, first 2 shown]
	v_fma_f64 v[43:44], v[51:52], s[22:23], -v[131:132]
	v_fma_f64 v[20:21], v[20:21], s[22:23], -v[133:134]
	;; [unrolled: 1-line block ×6, first 2 shown]
	v_fma_f64 v[29:30], v[30:31], s[0:1], v[2:3]
	v_fma_f64 v[31:32], v[32:33], s[0:1], v[0:1]
	v_fma_f64 v[66:67], v[66:67], s[12:13], -v[70:71]
	v_mov_b32_e32 v41, v22
	v_lshlrev_b64_e32 v[83:84], 4, v[84:85]
	v_lshlrev_b64_e32 v[85:86], 4, v[86:87]
	v_fma_f64 v[14:15], v[14:15], s[0:1], v[6:7]
	v_fma_f64 v[45:46], v[45:46], s[0:1], v[4:5]
	v_fma_f64 v[68:69], v[68:69], s[12:13], -v[72:73]
	v_fma_f64 v[70:71], v[18:19], s[24:25], v[102:103]
	v_fma_f64 v[72:73], v[125:126], s[10:11], v[114:115]
	;; [unrolled: 1-line block ×4, first 2 shown]
	v_fma_f64 v[99:100], v[74:75], s[20:21], -v[114:115]
	v_fma_f64 v[18:19], v[18:19], s[22:23], -v[120:121]
	;; [unrolled: 1-line block ×8, first 2 shown]
	v_add_co_u32 v81, vcc_lo, v142, v60
	s_wait_alu 0xfffd
	v_add_co_ci_u32_e32 v82, vcc_lo, v143, v61, vcc_lo
	v_add_co_u32 v61, vcc_lo, v142, v62
	v_fma_f64 v[93:94], v[10:11], s[26:27], v[25:26]
	v_fma_f64 v[33:34], v[16:17], s[26:27], v[34:35]
	;; [unrolled: 1-line block ×6, first 2 shown]
	v_add_f64_e32 v[53:54], v[23:24], v[29:30]
	v_add_f64_e32 v[107:108], v[27:28], v[31:32]
	;; [unrolled: 1-line block ×5, first 2 shown]
	s_wait_alu 0xfffd
	v_add_co_ci_u32_e32 v62, vcc_lo, v143, v63, vcc_lo
	v_add_co_u32 v63, vcc_lo, v142, v64
	s_wait_alu 0xfffd
	v_add_co_ci_u32_e32 v64, vcc_lo, v143, v65, vcc_lo
	v_add_co_u32 v65, vcc_lo, v142, v90
	v_add_f64_e32 v[29:30], v[68:69], v[31:32]
	v_fma_f64 v[67:68], v[8:9], s[26:27], v[70:71]
	v_add_f64_e32 v[71:72], v[72:73], v[14:15]
	v_add_f64_e32 v[112:113], v[36:37], v[45:46]
	s_wait_alu 0xfffd
	v_add_co_ci_u32_e32 v66, vcc_lo, v143, v91, vcc_lo
	v_add_f64_e32 v[97:98], v[99:100], v[14:15]
	v_fma_f64 v[99:100], v[12:13], s[26:27], v[38:39]
	v_fma_f64 v[69:70], v[8:9], s[26:27], v[18:19]
	;; [unrolled: 1-line block ×4, first 2 shown]
	v_add_f64_e32 v[36:37], v[103:104], v[45:46]
	v_add_f64_e32 v[73:74], v[74:75], v[14:15]
	v_fma_f64 v[79:80], v[12:13], s[26:27], v[79:80]
	v_add_f64_e32 v[103:104], v[77:78], v[45:46]
	v_lshlrev_b64_e32 v[8:9], 4, v[136:137]
	v_mov_b32_e32 v77, v92
	v_dual_mov_b32 v43, v110 :: v_dual_mov_b32 v60, v111
	s_delay_alu instid0(VALU_DEP_3) | instskip(SKIP_1) | instid1(VALU_DEP_4)
	v_add_co_u32 v114, vcc_lo, v142, v8
	s_wait_alu 0xfffd
	v_add_co_ci_u32_e32 v115, vcc_lo, v143, v9, vcc_lo
	v_add_f64_e32 v[10:11], v[93:94], v[53:54]
	v_add_f64_e64 v[8:9], v[107:108], -v[33:34]
	v_add_f64_e32 v[14:15], v[25:26], v[27:28]
	v_add_f64_e64 v[18:19], v[23:24], -v[20:21]
	;; [unrolled: 2-line block ×4, first 2 shown]
	v_lshlrev_b64_e32 v[75:76], 4, v[76:77]
	v_lshlrev_b64_e32 v[77:78], 4, v[40:41]
	;; [unrolled: 1-line block ×4, first 2 shown]
	v_add_f64_e32 v[16:17], v[51:52], v[29:30]
	v_add_f64_e64 v[20:21], v[29:30], -v[51:52]
	v_add_f64_e64 v[30:31], v[53:54], -v[93:94]
	v_add_f64_e32 v[28:29], v[33:34], v[107:108]
	v_add_f64_e64 v[54:55], v[71:72], -v[67:68]
	v_add_f64_e32 v[34:35], v[67:68], v[71:72]
	v_add_co_u32 v67, vcc_lo, v142, v75
	v_add_f64_e32 v[52:53], v[99:100], v[112:113]
	v_add_f64_e64 v[50:51], v[97:98], -v[69:70]
	v_add_f64_e32 v[38:39], v[69:70], v[97:98]
	v_add_f64_e32 v[48:49], v[101:102], v[36:37]
	;; [unrolled: 1-line block ×3, first 2 shown]
	v_add_f64_e64 v[42:43], v[73:74], -v[90:91]
	v_add_f64_e64 v[44:45], v[103:104], -v[79:80]
	v_add_f64_e32 v[40:41], v[79:80], v[103:104]
	v_add_f64_e64 v[36:37], v[36:37], -v[101:102]
	v_add_f64_e64 v[32:33], v[112:113], -v[99:100]
	s_wait_alu 0xfffd
	v_add_co_ci_u32_e32 v68, vcc_lo, v143, v76, vcc_lo
	v_add_co_u32 v69, vcc_lo, v142, v77
	s_wait_alu 0xfffd
	v_add_co_ci_u32_e32 v70, vcc_lo, v143, v78, vcc_lo
	v_add_co_u32 v71, vcc_lo, v142, v109
	;; [unrolled: 3-line block ×5, first 2 shown]
	s_wait_alu 0xfffd
	v_add_co_ci_u32_e32 v76, vcc_lo, v143, v86, vcc_lo
	s_clause 0xd
	global_store_b128 v[88:89], v[0:3], off
	global_store_b128 v[138:139], v[28:31], off
	global_store_b128 v[56:57], v[24:27], off
	global_store_b128 v[81:82], v[20:23], off
	global_store_b128 v[61:62], v[16:19], off
	global_store_b128 v[63:64], v[12:15], off
	global_store_b128 v[65:66], v[8:11], off
	global_store_b128 v[114:115], v[4:7], off
	global_store_b128 v[67:68], v[52:55], off
	global_store_b128 v[69:70], v[48:51], off
	global_store_b128 v[71:72], v[44:47], off
	global_store_b128 v[58:59], v[40:43], off
	global_store_b128 v[73:74], v[36:39], off
	global_store_b128 v[75:76], v[32:35], off
.LBB0_22:
	s_nop 0
	s_sendmsg sendmsg(MSG_DEALLOC_VGPRS)
	s_endpgm
	.section	.rodata,"a",@progbits
	.p2align	6, 0x0
	.amdhsa_kernel fft_rtc_fwd_len1078_factors_2_11_7_7_wgs_231_tpt_77_halfLds_dp_op_CI_CI_sbrr_dirReg
		.amdhsa_group_segment_fixed_size 0
		.amdhsa_private_segment_fixed_size 0
		.amdhsa_kernarg_size 104
		.amdhsa_user_sgpr_count 2
		.amdhsa_user_sgpr_dispatch_ptr 0
		.amdhsa_user_sgpr_queue_ptr 0
		.amdhsa_user_sgpr_kernarg_segment_ptr 1
		.amdhsa_user_sgpr_dispatch_id 0
		.amdhsa_user_sgpr_private_segment_size 0
		.amdhsa_wavefront_size32 1
		.amdhsa_uses_dynamic_stack 0
		.amdhsa_enable_private_segment 0
		.amdhsa_system_sgpr_workgroup_id_x 1
		.amdhsa_system_sgpr_workgroup_id_y 0
		.amdhsa_system_sgpr_workgroup_id_z 0
		.amdhsa_system_sgpr_workgroup_info 0
		.amdhsa_system_vgpr_workitem_id 0
		.amdhsa_next_free_vgpr 205
		.amdhsa_next_free_sgpr 43
		.amdhsa_reserve_vcc 1
		.amdhsa_float_round_mode_32 0
		.amdhsa_float_round_mode_16_64 0
		.amdhsa_float_denorm_mode_32 3
		.amdhsa_float_denorm_mode_16_64 3
		.amdhsa_fp16_overflow 0
		.amdhsa_workgroup_processor_mode 1
		.amdhsa_memory_ordered 1
		.amdhsa_forward_progress 0
		.amdhsa_round_robin_scheduling 0
		.amdhsa_exception_fp_ieee_invalid_op 0
		.amdhsa_exception_fp_denorm_src 0
		.amdhsa_exception_fp_ieee_div_zero 0
		.amdhsa_exception_fp_ieee_overflow 0
		.amdhsa_exception_fp_ieee_underflow 0
		.amdhsa_exception_fp_ieee_inexact 0
		.amdhsa_exception_int_div_zero 0
	.end_amdhsa_kernel
	.text
.Lfunc_end0:
	.size	fft_rtc_fwd_len1078_factors_2_11_7_7_wgs_231_tpt_77_halfLds_dp_op_CI_CI_sbrr_dirReg, .Lfunc_end0-fft_rtc_fwd_len1078_factors_2_11_7_7_wgs_231_tpt_77_halfLds_dp_op_CI_CI_sbrr_dirReg
                                        ; -- End function
	.section	.AMDGPU.csdata,"",@progbits
; Kernel info:
; codeLenInByte = 13476
; NumSgprs: 45
; NumVgprs: 205
; ScratchSize: 0
; MemoryBound: 1
; FloatMode: 240
; IeeeMode: 1
; LDSByteSize: 0 bytes/workgroup (compile time only)
; SGPRBlocks: 5
; VGPRBlocks: 25
; NumSGPRsForWavesPerEU: 45
; NumVGPRsForWavesPerEU: 205
; Occupancy: 7
; WaveLimiterHint : 1
; COMPUTE_PGM_RSRC2:SCRATCH_EN: 0
; COMPUTE_PGM_RSRC2:USER_SGPR: 2
; COMPUTE_PGM_RSRC2:TRAP_HANDLER: 0
; COMPUTE_PGM_RSRC2:TGID_X_EN: 1
; COMPUTE_PGM_RSRC2:TGID_Y_EN: 0
; COMPUTE_PGM_RSRC2:TGID_Z_EN: 0
; COMPUTE_PGM_RSRC2:TIDIG_COMP_CNT: 0
	.text
	.p2alignl 7, 3214868480
	.fill 96, 4, 3214868480
	.type	__hip_cuid_412fd9b0d217a90c,@object ; @__hip_cuid_412fd9b0d217a90c
	.section	.bss,"aw",@nobits
	.globl	__hip_cuid_412fd9b0d217a90c
__hip_cuid_412fd9b0d217a90c:
	.byte	0                               ; 0x0
	.size	__hip_cuid_412fd9b0d217a90c, 1

	.ident	"AMD clang version 19.0.0git (https://github.com/RadeonOpenCompute/llvm-project roc-6.4.0 25133 c7fe45cf4b819c5991fe208aaa96edf142730f1d)"
	.section	".note.GNU-stack","",@progbits
	.addrsig
	.addrsig_sym __hip_cuid_412fd9b0d217a90c
	.amdgpu_metadata
---
amdhsa.kernels:
  - .args:
      - .actual_access:  read_only
        .address_space:  global
        .offset:         0
        .size:           8
        .value_kind:     global_buffer
      - .offset:         8
        .size:           8
        .value_kind:     by_value
      - .actual_access:  read_only
        .address_space:  global
        .offset:         16
        .size:           8
        .value_kind:     global_buffer
      - .actual_access:  read_only
        .address_space:  global
        .offset:         24
        .size:           8
        .value_kind:     global_buffer
      - .actual_access:  read_only
        .address_space:  global
        .offset:         32
        .size:           8
        .value_kind:     global_buffer
      - .offset:         40
        .size:           8
        .value_kind:     by_value
      - .actual_access:  read_only
        .address_space:  global
        .offset:         48
        .size:           8
        .value_kind:     global_buffer
      - .actual_access:  read_only
        .address_space:  global
        .offset:         56
        .size:           8
        .value_kind:     global_buffer
      - .offset:         64
        .size:           4
        .value_kind:     by_value
      - .actual_access:  read_only
        .address_space:  global
        .offset:         72
        .size:           8
        .value_kind:     global_buffer
      - .actual_access:  read_only
        .address_space:  global
        .offset:         80
        .size:           8
        .value_kind:     global_buffer
      - .actual_access:  read_only
        .address_space:  global
        .offset:         88
        .size:           8
        .value_kind:     global_buffer
      - .actual_access:  write_only
        .address_space:  global
        .offset:         96
        .size:           8
        .value_kind:     global_buffer
    .group_segment_fixed_size: 0
    .kernarg_segment_align: 8
    .kernarg_segment_size: 104
    .language:       OpenCL C
    .language_version:
      - 2
      - 0
    .max_flat_workgroup_size: 231
    .name:           fft_rtc_fwd_len1078_factors_2_11_7_7_wgs_231_tpt_77_halfLds_dp_op_CI_CI_sbrr_dirReg
    .private_segment_fixed_size: 0
    .sgpr_count:     45
    .sgpr_spill_count: 0
    .symbol:         fft_rtc_fwd_len1078_factors_2_11_7_7_wgs_231_tpt_77_halfLds_dp_op_CI_CI_sbrr_dirReg.kd
    .uniform_work_group_size: 1
    .uses_dynamic_stack: false
    .vgpr_count:     205
    .vgpr_spill_count: 0
    .wavefront_size: 32
    .workgroup_processor_mode: 1
amdhsa.target:   amdgcn-amd-amdhsa--gfx1201
amdhsa.version:
  - 1
  - 2
...

	.end_amdgpu_metadata
